;; amdgpu-corpus repo=ROCm/aiter kind=compiled arch=gfx90a opt=O3
	.text
	.amdgcn_target "amdgcn-amd-amdhsa--gfx90a"
	.amdhsa_code_object_version 6
	.section	.text._ZN7ck_tileL11flush_cacheEv,"axG",@progbits,_ZN7ck_tileL11flush_cacheEv,comdat
	.globl	_ZN7ck_tileL11flush_cacheEv     ; -- Begin function _ZN7ck_tileL11flush_cacheEv
	.p2align	8
	.type	_ZN7ck_tileL11flush_cacheEv,@function
_ZN7ck_tileL11flush_cacheEv:            ; @_ZN7ck_tileL11flush_cacheEv
; %bb.0:
	;;#ASMSTART
	s_icache_inv 
	s_nop 0 
	s_nop 0 
	;; [unrolled: 1-line block ×16, first 2 shown]
	
	;;#ASMEND
	s_endpgm
	.section	.rodata,"a",@progbits
	.p2align	6, 0x0
	.amdhsa_kernel _ZN7ck_tileL11flush_cacheEv
		.amdhsa_group_segment_fixed_size 0
		.amdhsa_private_segment_fixed_size 0
		.amdhsa_kernarg_size 0
		.amdhsa_user_sgpr_count 4
		.amdhsa_user_sgpr_private_segment_buffer 1
		.amdhsa_user_sgpr_dispatch_ptr 0
		.amdhsa_user_sgpr_queue_ptr 0
		.amdhsa_user_sgpr_kernarg_segment_ptr 0
		.amdhsa_user_sgpr_dispatch_id 0
		.amdhsa_user_sgpr_flat_scratch_init 0
		.amdhsa_user_sgpr_kernarg_preload_length 0
		.amdhsa_user_sgpr_kernarg_preload_offset 0
		.amdhsa_user_sgpr_private_segment_size 0
		.amdhsa_uses_dynamic_stack 0
		.amdhsa_system_sgpr_private_segment_wavefront_offset 0
		.amdhsa_system_sgpr_workgroup_id_x 1
		.amdhsa_system_sgpr_workgroup_id_y 0
		.amdhsa_system_sgpr_workgroup_id_z 0
		.amdhsa_system_sgpr_workgroup_info 0
		.amdhsa_system_vgpr_workitem_id 0
		.amdhsa_next_free_vgpr 1
		.amdhsa_next_free_sgpr 0
		.amdhsa_accum_offset 4
		.amdhsa_reserve_vcc 0
		.amdhsa_reserve_flat_scratch 0
		.amdhsa_float_round_mode_32 0
		.amdhsa_float_round_mode_16_64 0
		.amdhsa_float_denorm_mode_32 3
		.amdhsa_float_denorm_mode_16_64 3
		.amdhsa_dx10_clamp 1
		.amdhsa_ieee_mode 1
		.amdhsa_fp16_overflow 0
		.amdhsa_tg_split 0
		.amdhsa_exception_fp_ieee_invalid_op 0
		.amdhsa_exception_fp_denorm_src 0
		.amdhsa_exception_fp_ieee_div_zero 0
		.amdhsa_exception_fp_ieee_overflow 0
		.amdhsa_exception_fp_ieee_underflow 0
		.amdhsa_exception_fp_ieee_inexact 0
		.amdhsa_exception_int_div_zero 0
	.end_amdhsa_kernel
	.section	.text._ZN7ck_tileL11flush_cacheEv,"axG",@progbits,_ZN7ck_tileL11flush_cacheEv,comdat
.Lfunc_end0:
	.size	_ZN7ck_tileL11flush_cacheEv, .Lfunc_end0-_ZN7ck_tileL11flush_cacheEv
                                        ; -- End function
	.section	.AMDGPU.csdata,"",@progbits
; Kernel info:
; codeLenInByte = 140
; NumSgprs: 4
; NumVgprs: 0
; NumAgprs: 0
; TotalNumVgprs: 0
; ScratchSize: 0
; MemoryBound: 0
; FloatMode: 240
; IeeeMode: 1
; LDSByteSize: 0 bytes/workgroup (compile time only)
; SGPRBlocks: 0
; VGPRBlocks: 0
; NumSGPRsForWavesPerEU: 4
; NumVGPRsForWavesPerEU: 1
; AccumOffset: 4
; Occupancy: 8
; WaveLimiterHint : 0
; COMPUTE_PGM_RSRC2:SCRATCH_EN: 0
; COMPUTE_PGM_RSRC2:USER_SGPR: 4
; COMPUTE_PGM_RSRC2:TRAP_HANDLER: 0
; COMPUTE_PGM_RSRC2:TGID_X_EN: 1
; COMPUTE_PGM_RSRC2:TGID_Y_EN: 0
; COMPUTE_PGM_RSRC2:TGID_Z_EN: 0
; COMPUTE_PGM_RSRC2:TIDIG_COMP_CNT: 0
; COMPUTE_PGM_RSRC3_GFX90A:ACCUM_OFFSET: 0
; COMPUTE_PGM_RSRC3_GFX90A:TG_SPLIT: 0
	.section	.text._ZN5aiter23fused_qk_rmsnorm_kernelIDF16_Li64ELi8ELb1ELi4EEEvPT_S2_PKS1_S4_S4_S4_ffiiiiiii,"axG",@progbits,_ZN5aiter23fused_qk_rmsnorm_kernelIDF16_Li64ELi8ELb1ELi4EEEvPT_S2_PKS1_S4_S4_S4_ffiiiiiii,comdat
	.protected	_ZN5aiter23fused_qk_rmsnorm_kernelIDF16_Li64ELi8ELb1ELi4EEEvPT_S2_PKS1_S4_S4_S4_ffiiiiiii ; -- Begin function _ZN5aiter23fused_qk_rmsnorm_kernelIDF16_Li64ELi8ELb1ELi4EEEvPT_S2_PKS1_S4_S4_S4_ffiiiiiii
	.globl	_ZN5aiter23fused_qk_rmsnorm_kernelIDF16_Li64ELi8ELb1ELi4EEEvPT_S2_PKS1_S4_S4_S4_ffiiiiiii
	.p2align	8
	.type	_ZN5aiter23fused_qk_rmsnorm_kernelIDF16_Li64ELi8ELb1ELi4EEEvPT_S2_PKS1_S4_S4_S4_ffiiiiiii,@function
_ZN5aiter23fused_qk_rmsnorm_kernelIDF16_Li64ELi8ELb1ELi4EEEvPT_S2_PKS1_S4_S4_S4_ffiiiiiii: ; @_ZN5aiter23fused_qk_rmsnorm_kernelIDF16_Li64ELi8ELb1ELi4EEEvPT_S2_PKS1_S4_S4_S4_ffiiiiiii
; %bb.0:
	s_load_dwordx8 s[8:15], s[4:5], 0x30
	s_mov_b32 s0, s7
	s_mov_b32 s7, 0
	s_lshl_b64 s[16:17], s[6:7], 2
	s_waitcnt lgkmcnt(0)
	s_ashr_i32 s19, s10, 31
	s_mov_b32 s18, s10
	v_pk_mov_b32 v[2:3], s[18:19], s[18:19] op_sel:[0,1]
	v_cmp_ge_i64_e32 vcc, s[16:17], v[2:3]
	s_cbranch_vccnz .LBB1_9
; %bb.1:
	s_load_dwordx8 s[20:27], s[4:5], 0x0
	s_load_dwordx4 s[28:31], s[4:5], 0x20
	s_load_dword s2, s[4:5], 0x50
	s_cmp_eq_u32 s0, 0
	s_cselect_b64 vcc, -1, 0
	s_and_b64 s[0:1], vcc, exec
	v_mov_b32_e32 v2, s8
	s_cselect_b32 s8, s13, s14
	v_mov_b32_e32 v1, s9
	s_cselect_b32 s7, s11, s12
	s_waitcnt lgkmcnt(0)
	s_cselect_b32 s25, s25, s27
	s_cselect_b32 s24, s24, s26
	;; [unrolled: 1-line block ×7, first 2 shown]
	s_ashr_i32 s9, s8, 31
	s_mul_i32 s2, s16, s9
	s_mul_hi_u32 s3, s16, s8
	s_add_i32 s2, s3, s2
	s_mul_i32 s3, s17, s8
	s_add_i32 s3, s2, s3
	s_mul_i32 s2, s16, s8
	s_lshl_b64 s[2:3], s[2:3], 1
	s_add_u32 s12, s24, s2
	s_addc_u32 s4, s25, s3
	s_add_i32 s2, s7, 1
	s_lshr_b32 s3, s2, 31
	s_add_i32 s2, s2, s3
	s_lshl_b32 s2, s2, 1
	s_and_b32 s2, s2, -4
	s_and_b32 s1, s1, 0xffff
	s_mov_b32 s3, 0x20000
	v_lshlrev_b32_e32 v19, 4, v0
	buffer_load_dwordx4 v[4:7], v19, s[0:3], 0 offen
	s_and_b32 s13, s4, 0xffff
	s_mov_b32 s14, s2
	s_mov_b32 s15, s3
	v_cndmask_b32_e32 v18, v1, v2, vcc
	buffer_load_dwordx4 v[0:3], v19, s[12:15], 0 offen glc slc
	s_ashr_i32 s11, s10, 31
	s_mul_hi_u32 s1, s10, s6
	s_mul_i32 s0, s10, s6
	s_mul_i32 s6, s11, s6
	s_add_i32 s1, s1, s6
	s_lshl_b64 s[0:1], s[0:1], 3
	s_add_u32 s13, s20, s0
	v_cvt_f32_i32_e32 v20, s7
	s_addc_u32 s14, s21, s1
	s_lshl_b64 s[6:7], s[10:11], 1
	s_add_u32 s0, s16, 1
	s_addc_u32 s1, s17, 0
	s_mul_hi_u32 s10, s0, s8
	s_mul_i32 s11, s0, s9
	s_add_i32 s10, s10, s11
	s_mul_i32 s1, s1, s8
	s_mul_i32 s0, s0, s8
	s_add_i32 s1, s10, s1
	s_lshl_b64 s[0:1], s[0:1], 1
	s_add_u32 s15, s24, s0
	s_mov_b64 s[4:5], 0
	v_pk_mov_b32 v[8:9], s[18:19], s[18:19] op_sel:[0,1]
	s_mov_b32 s12, 0x800000
	s_addc_u32 s20, s25, s1
	s_lshl_b64 s[8:9], s[8:9], 1
	s_waitcnt vmcnt(1)
	v_cvt_f32_f16_e32 v10, v4
	v_cvt_f32_f16_sdwa v11, v4 dst_sel:DWORD dst_unused:UNUSED_PAD src0_sel:WORD_1
	v_cvt_f32_f16_e32 v12, v5
	v_cvt_f32_f16_sdwa v13, v5 dst_sel:DWORD dst_unused:UNUSED_PAD src0_sel:WORD_1
	;; [unrolled: 2-line block ×4, first 2 shown]
	v_mbcnt_lo_u32_b32 v4, -1, 0
	v_mbcnt_hi_u32_b32 v4, -1, v4
	v_bfrev_b32_e32 v5, 0.5
	v_lshl_or_b32 v21, v4, 2, v5
	s_branch .LBB1_3
.LBB1_2:                                ;   in Loop: Header=BB1_3 Depth=1
	s_cmp_eq_u32 s4, 3
	v_cmp_ge_i64_e32 vcc, s[10:11], v[8:9]
	s_cselect_b64 s[0:1], -1, 0
	s_or_b64 s[0:1], vcc, s[0:1]
	s_add_u32 s4, s4, 1
	s_addc_u32 s5, s5, 0
	s_add_u32 s13, s13, s6
	s_addc_u32 s14, s14, s7
	s_add_u32 s15, s15, s8
	s_waitcnt vmcnt(0)
	v_pk_mov_b32 v[0:1], v[4:5], v[4:5] op_sel:[0,1]
	s_addc_u32 s20, s20, s9
	s_andn2_b64 vcc, exec, s[0:1]
	v_pk_mov_b32 v[2:3], v[6:7], v[6:7] op_sel:[0,1]
	s_cbranch_vccz .LBB1_9
.LBB1_3:                                ; =>This Inner Loop Header: Depth=1
	s_add_u32 s10, s16, s4
	s_addc_u32 s11, s17, s5
	v_cmp_lt_i64_e32 vcc, s[10:11], v[8:9]
	s_cbranch_vccz .LBB1_7
; %bb.4:                                ;   in Loop: Header=BB1_3 Depth=1
	s_cmp_lg_u32 s4, 3
	s_cselect_b64 s[0:1], -1, 0
	s_add_u32 s22, s10, 1
	s_addc_u32 s23, s11, 0
	v_pk_mov_b32 v[4:5], s[18:19], s[18:19] op_sel:[0,1]
	v_cmp_lt_i64_e32 vcc, s[22:23], v[4:5]
	s_and_b64 s[0:1], s[0:1], vcc
	s_waitcnt vmcnt(0)
	v_pk_mov_b32 v[6:7], v[2:3], v[2:3] op_sel:[0,1]
	s_andn2_b64 vcc, exec, s[0:1]
	v_pk_mov_b32 v[4:5], v[0:1], v[0:1] op_sel:[0,1]
	s_cbranch_vccnz .LBB1_6
; %bb.5:                                ;   in Loop: Header=BB1_3 Depth=1
	s_and_b32 s1, s20, 0xffff
	s_mov_b32 s0, s15
	buffer_load_dwordx4 v[4:7], v19, s[0:3], 0 offen glc slc
.LBB1_6:                                ;   in Loop: Header=BB1_3 Depth=1
	v_cvt_f32_f16_sdwa v23, v0 dst_sel:DWORD dst_unused:UNUSED_PAD src0_sel:WORD_1
	v_cvt_f32_f16_e32 v22, v0
	v_cvt_f32_f16_sdwa v25, v1 dst_sel:DWORD dst_unused:UNUSED_PAD src0_sel:WORD_1
	v_cvt_f32_f16_e32 v24, v1
	;; [unrolled: 2-line block ×3, first 2 shown]
	v_pk_mul_f32 v[30:31], v[22:23], v[22:23]
	v_cvt_f32_f16_sdwa v29, v3 dst_sel:DWORD dst_unused:UNUSED_PAD src0_sel:WORD_1
	v_cvt_f32_f16_e32 v28, v3
	v_pk_mul_f32 v[32:33], v[24:25], v[24:25]
	v_add_f32_e32 v30, v30, v31
	v_add_f32_e32 v30, v30, v32
	v_pk_mul_f32 v[34:35], v[26:27], v[26:27]
	v_add_f32_e32 v30, v30, v33
	v_add_f32_e32 v30, v30, v34
	;; [unrolled: 3-line block ×3, first 2 shown]
	v_add_f32_e32 v30, v30, v37
	s_nop 1
	v_mov_b32_dpp v31, v30 quad_perm:[1,0,3,2] row_mask:0xf bank_mask:0xf
	v_add_f32_e32 v30, v30, v31
	s_nop 1
	v_mov_b32_dpp v31, v30 quad_perm:[2,3,0,1] row_mask:0xf bank_mask:0xf
	v_add_f32_e32 v30, v30, v31
	s_nop 1
	v_mov_b32_dpp v31, v30 row_half_mirror row_mask:0xf bank_mask:0xf
	v_add_f32_e32 v30, v30, v31
	s_nop 1
	v_mov_b32_dpp v31, v30 row_mirror row_mask:0xf bank_mask:0xf
	v_add_f32_e32 v30, v30, v31
	s_nop 1
	v_mov_b32_dpp v31, v30 row_bcast:15 row_mask:0xf bank_mask:0xf
	v_add_f32_e32 v30, v30, v31
	s_nop 1
	v_mov_b32_dpp v31, v30 row_bcast:31 row_mask:0xf bank_mask:0xf
	v_add_f32_e32 v30, v30, v31
	ds_bpermute_b32 v30, v21, v30
	s_waitcnt lgkmcnt(0)
	v_div_scale_f32 v31, s[0:1], v20, v20, v30
	v_rcp_f32_e32 v32, v31
	s_and_b32 s1, s14, 0xffff
	s_mov_b32 s0, s13
	v_fma_f32 v33, -v31, v32, 1.0
	v_fmac_f32_e32 v32, v33, v32
	v_div_scale_f32 v33, vcc, v30, v20, v30
	v_mul_f32_e32 v34, v33, v32
	v_fma_f32 v35, -v31, v34, v33
	v_fmac_f32_e32 v34, v35, v32
	v_fma_f32 v31, -v31, v34, v33
	v_div_fmas_f32 v31, v31, v32, v34
	v_div_fixup_f32 v30, v31, v20, v30
	v_add_f32_e32 v30, v18, v30
	v_mul_f32_e32 v31, 0x4b800000, v30
	v_cmp_gt_f32_e32 vcc, s12, v30
	v_cndmask_b32_e32 v30, v30, v31, vcc
	v_rsq_f32_e32 v30, v30
	v_mul_f32_e32 v31, 0x45800000, v30
	v_cndmask_b32_e32 v30, v30, v31, vcc
	v_mov_b32_e32 v31, v30
	;;#ASMSTART
	v_pk_mul_f32 v[22:23], v[22:23], v[30:31]
	;;#ASMEND
	;;#ASMSTART
	v_pk_mul_f32 v[24:25], v[24:25], v[30:31]
	;;#ASMEND
	;; [unrolled: 3-line block ×8, first 2 shown]
	v_cvt_f16_f32_e32 v22, v22
	v_cvt_f16_f32_e32 v23, v23
	;; [unrolled: 1-line block ×8, first 2 shown]
	v_pack_b32_f16 v22, v22, v23
	v_pack_b32_f16 v23, v24, v25
	;; [unrolled: 1-line block ×4, first 2 shown]
	buffer_store_dwordx4 v[22:25], v19, s[0:3], 0 offen
	;;#ASMSTART
	s_nop 0
	;;#ASMEND
	s_branch .LBB1_2
.LBB1_7:                                ;   in Loop: Header=BB1_3 Depth=1
                                        ; implicit-def: $vgpr4_vgpr5_vgpr6_vgpr7
	s_cbranch_execz .LBB1_2
; %bb.8:                                ;   in Loop: Header=BB1_3 Depth=1
	s_waitcnt vmcnt(0)
	v_pk_mov_b32 v[6:7], v[2:3], v[2:3] op_sel:[0,1]
	v_pk_mov_b32 v[4:5], v[0:1], v[0:1] op_sel:[0,1]
	s_branch .LBB1_2
.LBB1_9:
	s_endpgm
	.section	.rodata,"a",@progbits
	.p2align	6, 0x0
	.amdhsa_kernel _ZN5aiter23fused_qk_rmsnorm_kernelIDF16_Li64ELi8ELb1ELi4EEEvPT_S2_PKS1_S4_S4_S4_ffiiiiiii
		.amdhsa_group_segment_fixed_size 0
		.amdhsa_private_segment_fixed_size 0
		.amdhsa_kernarg_size 84
		.amdhsa_user_sgpr_count 6
		.amdhsa_user_sgpr_private_segment_buffer 1
		.amdhsa_user_sgpr_dispatch_ptr 0
		.amdhsa_user_sgpr_queue_ptr 0
		.amdhsa_user_sgpr_kernarg_segment_ptr 1
		.amdhsa_user_sgpr_dispatch_id 0
		.amdhsa_user_sgpr_flat_scratch_init 0
		.amdhsa_user_sgpr_kernarg_preload_length 0
		.amdhsa_user_sgpr_kernarg_preload_offset 0
		.amdhsa_user_sgpr_private_segment_size 0
		.amdhsa_uses_dynamic_stack 0
		.amdhsa_system_sgpr_private_segment_wavefront_offset 0
		.amdhsa_system_sgpr_workgroup_id_x 1
		.amdhsa_system_sgpr_workgroup_id_y 1
		.amdhsa_system_sgpr_workgroup_id_z 0
		.amdhsa_system_sgpr_workgroup_info 0
		.amdhsa_system_vgpr_workitem_id 0
		.amdhsa_next_free_vgpr 38
		.amdhsa_next_free_sgpr 32
		.amdhsa_accum_offset 40
		.amdhsa_reserve_vcc 1
		.amdhsa_reserve_flat_scratch 0
		.amdhsa_float_round_mode_32 0
		.amdhsa_float_round_mode_16_64 0
		.amdhsa_float_denorm_mode_32 3
		.amdhsa_float_denorm_mode_16_64 3
		.amdhsa_dx10_clamp 1
		.amdhsa_ieee_mode 1
		.amdhsa_fp16_overflow 0
		.amdhsa_tg_split 0
		.amdhsa_exception_fp_ieee_invalid_op 0
		.amdhsa_exception_fp_denorm_src 0
		.amdhsa_exception_fp_ieee_div_zero 0
		.amdhsa_exception_fp_ieee_overflow 0
		.amdhsa_exception_fp_ieee_underflow 0
		.amdhsa_exception_fp_ieee_inexact 0
		.amdhsa_exception_int_div_zero 0
	.end_amdhsa_kernel
	.section	.text._ZN5aiter23fused_qk_rmsnorm_kernelIDF16_Li64ELi8ELb1ELi4EEEvPT_S2_PKS1_S4_S4_S4_ffiiiiiii,"axG",@progbits,_ZN5aiter23fused_qk_rmsnorm_kernelIDF16_Li64ELi8ELb1ELi4EEEvPT_S2_PKS1_S4_S4_S4_ffiiiiiii,comdat
.Lfunc_end1:
	.size	_ZN5aiter23fused_qk_rmsnorm_kernelIDF16_Li64ELi8ELb1ELi4EEEvPT_S2_PKS1_S4_S4_S4_ffiiiiiii, .Lfunc_end1-_ZN5aiter23fused_qk_rmsnorm_kernelIDF16_Li64ELi8ELb1ELi4EEEvPT_S2_PKS1_S4_S4_S4_ffiiiiiii
                                        ; -- End function
	.section	.AMDGPU.csdata,"",@progbits
; Kernel info:
; codeLenInByte = 1124
; NumSgprs: 36
; NumVgprs: 38
; NumAgprs: 0
; TotalNumVgprs: 38
; ScratchSize: 0
; MemoryBound: 0
; FloatMode: 240
; IeeeMode: 1
; LDSByteSize: 0 bytes/workgroup (compile time only)
; SGPRBlocks: 4
; VGPRBlocks: 4
; NumSGPRsForWavesPerEU: 36
; NumVGPRsForWavesPerEU: 38
; AccumOffset: 40
; Occupancy: 8
; WaveLimiterHint : 0
; COMPUTE_PGM_RSRC2:SCRATCH_EN: 0
; COMPUTE_PGM_RSRC2:USER_SGPR: 6
; COMPUTE_PGM_RSRC2:TRAP_HANDLER: 0
; COMPUTE_PGM_RSRC2:TGID_X_EN: 1
; COMPUTE_PGM_RSRC2:TGID_Y_EN: 1
; COMPUTE_PGM_RSRC2:TGID_Z_EN: 0
; COMPUTE_PGM_RSRC2:TIDIG_COMP_CNT: 0
; COMPUTE_PGM_RSRC3_GFX90A:ACCUM_OFFSET: 9
; COMPUTE_PGM_RSRC3_GFX90A:TG_SPLIT: 0
	.section	.text._ZN5aiter23fused_qk_rmsnorm_kernelItLi64ELi8ELb1ELi4EEEvPT_S2_PKS1_S4_S4_S4_ffiiiiiii,"axG",@progbits,_ZN5aiter23fused_qk_rmsnorm_kernelItLi64ELi8ELb1ELi4EEEvPT_S2_PKS1_S4_S4_S4_ffiiiiiii,comdat
	.protected	_ZN5aiter23fused_qk_rmsnorm_kernelItLi64ELi8ELb1ELi4EEEvPT_S2_PKS1_S4_S4_S4_ffiiiiiii ; -- Begin function _ZN5aiter23fused_qk_rmsnorm_kernelItLi64ELi8ELb1ELi4EEEvPT_S2_PKS1_S4_S4_S4_ffiiiiiii
	.globl	_ZN5aiter23fused_qk_rmsnorm_kernelItLi64ELi8ELb1ELi4EEEvPT_S2_PKS1_S4_S4_S4_ffiiiiiii
	.p2align	8
	.type	_ZN5aiter23fused_qk_rmsnorm_kernelItLi64ELi8ELb1ELi4EEEvPT_S2_PKS1_S4_S4_S4_ffiiiiiii,@function
_ZN5aiter23fused_qk_rmsnorm_kernelItLi64ELi8ELb1ELi4EEEvPT_S2_PKS1_S4_S4_S4_ffiiiiiii: ; @_ZN5aiter23fused_qk_rmsnorm_kernelItLi64ELi8ELb1ELi4EEEvPT_S2_PKS1_S4_S4_S4_ffiiiiiii
; %bb.0:
	s_load_dwordx8 s[8:15], s[4:5], 0x30
	s_mov_b32 s0, s7
	s_mov_b32 s7, 0
	s_lshl_b64 s[16:17], s[6:7], 2
	s_waitcnt lgkmcnt(0)
	s_ashr_i32 s19, s10, 31
	s_mov_b32 s18, s10
	v_pk_mov_b32 v[2:3], s[18:19], s[18:19] op_sel:[0,1]
	v_cmp_ge_i64_e32 vcc, s[16:17], v[2:3]
	s_cbranch_vccnz .LBB2_9
; %bb.1:
	s_load_dwordx8 s[20:27], s[4:5], 0x0
	s_load_dwordx4 s[28:31], s[4:5], 0x20
	s_load_dword s2, s[4:5], 0x50
	s_cmp_eq_u32 s0, 0
	s_cselect_b64 vcc, -1, 0
	s_and_b64 s[0:1], vcc, exec
	v_mov_b32_e32 v2, s8
	s_cselect_b32 s8, s13, s14
	v_mov_b32_e32 v1, s9
	s_cselect_b32 s7, s11, s12
	s_waitcnt lgkmcnt(0)
	s_cselect_b32 s25, s25, s27
	s_cselect_b32 s24, s24, s26
	;; [unrolled: 1-line block ×7, first 2 shown]
	s_ashr_i32 s9, s8, 31
	s_mul_i32 s2, s16, s9
	s_mul_hi_u32 s3, s16, s8
	s_add_i32 s2, s3, s2
	s_mul_i32 s3, s17, s8
	s_add_i32 s3, s2, s3
	s_mul_i32 s2, s16, s8
	s_lshl_b64 s[2:3], s[2:3], 1
	s_add_u32 s12, s24, s2
	s_addc_u32 s4, s25, s3
	s_add_i32 s2, s7, 1
	s_lshr_b32 s3, s2, 31
	s_add_i32 s2, s2, s3
	s_lshl_b32 s2, s2, 1
	s_and_b32 s2, s2, -4
	s_and_b32 s1, s1, 0xffff
	s_mov_b32 s3, 0x20000
	v_lshlrev_b32_e32 v19, 4, v0
	buffer_load_dwordx4 v[4:7], v19, s[0:3], 0 offen
	s_and_b32 s13, s4, 0xffff
	s_mov_b32 s14, s2
	s_mov_b32 s15, s3
	v_cndmask_b32_e32 v18, v1, v2, vcc
	buffer_load_dwordx4 v[0:3], v19, s[12:15], 0 offen glc slc
	s_ashr_i32 s11, s10, 31
	s_mul_hi_u32 s1, s10, s6
	s_mul_i32 s0, s10, s6
	s_mul_i32 s6, s11, s6
	s_add_i32 s1, s1, s6
	s_lshl_b64 s[0:1], s[0:1], 3
	s_add_u32 s14, s20, s0
	v_cvt_f32_i32_e32 v20, s7
	s_addc_u32 s15, s21, s1
	s_lshl_b64 s[6:7], s[10:11], 1
	s_add_u32 s0, s16, 1
	s_addc_u32 s1, s17, 0
	s_mul_hi_u32 s10, s0, s8
	s_mul_i32 s11, s0, s9
	s_add_i32 s10, s10, s11
	s_mul_i32 s1, s1, s8
	s_mul_i32 s0, s0, s8
	s_add_i32 s1, s10, s1
	s_lshl_b64 s[0:1], s[0:1], 1
	s_add_u32 s20, s24, s0
	s_mov_b64 s[4:5], 0
	v_pk_mov_b32 v[8:9], s[18:19], s[18:19] op_sel:[0,1]
	s_mov_b32 s12, 0x800000
	s_mov_b32 s13, 0x7060302
	s_addc_u32 s21, s25, s1
	s_lshl_b64 s[8:9], s[8:9], 1
	s_waitcnt vmcnt(1)
	v_cvt_f32_u32_sdwa v11, v4 dst_sel:DWORD dst_unused:UNUSED_PAD src0_sel:WORD_1
	v_cvt_f32_u32_sdwa v10, v4 dst_sel:DWORD dst_unused:UNUSED_PAD src0_sel:WORD_0
	v_cvt_f32_u32_sdwa v13, v5 dst_sel:DWORD dst_unused:UNUSED_PAD src0_sel:WORD_1
	v_cvt_f32_u32_sdwa v12, v5 dst_sel:DWORD dst_unused:UNUSED_PAD src0_sel:WORD_0
	;; [unrolled: 2-line block ×4, first 2 shown]
	v_mbcnt_lo_u32_b32 v4, -1, 0
	v_mbcnt_hi_u32_b32 v4, -1, v4
	v_bfrev_b32_e32 v5, 0.5
	v_lshl_or_b32 v21, v4, 2, v5
	s_branch .LBB2_3
.LBB2_2:                                ;   in Loop: Header=BB2_3 Depth=1
	s_cmp_eq_u32 s4, 3
	v_cmp_ge_i64_e32 vcc, s[10:11], v[8:9]
	s_cselect_b64 s[0:1], -1, 0
	s_or_b64 s[0:1], vcc, s[0:1]
	s_add_u32 s4, s4, 1
	s_addc_u32 s5, s5, 0
	s_add_u32 s14, s14, s6
	s_addc_u32 s15, s15, s7
	s_add_u32 s20, s20, s8
	s_waitcnt vmcnt(0)
	v_pk_mov_b32 v[0:1], v[4:5], v[4:5] op_sel:[0,1]
	s_addc_u32 s21, s21, s9
	s_andn2_b64 vcc, exec, s[0:1]
	v_pk_mov_b32 v[2:3], v[6:7], v[6:7] op_sel:[0,1]
	s_cbranch_vccz .LBB2_9
.LBB2_3:                                ; =>This Inner Loop Header: Depth=1
	s_add_u32 s10, s16, s4
	s_addc_u32 s11, s17, s5
	v_cmp_lt_i64_e32 vcc, s[10:11], v[8:9]
	s_cbranch_vccz .LBB2_7
; %bb.4:                                ;   in Loop: Header=BB2_3 Depth=1
	s_cmp_lg_u32 s4, 3
	s_cselect_b64 s[0:1], -1, 0
	s_add_u32 s22, s10, 1
	s_addc_u32 s23, s11, 0
	v_pk_mov_b32 v[4:5], s[18:19], s[18:19] op_sel:[0,1]
	v_cmp_lt_i64_e32 vcc, s[22:23], v[4:5]
	s_and_b64 s[0:1], s[0:1], vcc
	s_waitcnt vmcnt(0)
	v_pk_mov_b32 v[6:7], v[2:3], v[2:3] op_sel:[0,1]
	s_andn2_b64 vcc, exec, s[0:1]
	v_pk_mov_b32 v[4:5], v[0:1], v[0:1] op_sel:[0,1]
	s_cbranch_vccnz .LBB2_6
; %bb.5:                                ;   in Loop: Header=BB2_3 Depth=1
	s_and_b32 s1, s21, 0xffff
	s_mov_b32 s0, s20
	buffer_load_dwordx4 v[4:7], v19, s[0:3], 0 offen glc slc
.LBB2_6:                                ;   in Loop: Header=BB2_3 Depth=1
	v_and_b32_e32 v23, 0xffff0000, v0
	v_lshlrev_b32_e32 v22, 16, v0
	v_mul_f32_e32 v32, v23, v23
	v_lshlrev_b32_e32 v24, 16, v1
	v_fmac_f32_e32 v32, v22, v22
	v_and_b32_e32 v25, 0xffff0000, v1
	v_fmac_f32_e32 v32, v24, v24
	v_lshlrev_b32_e32 v26, 16, v2
	v_fmac_f32_e32 v32, v25, v25
	v_and_b32_e32 v27, 0xffff0000, v2
	v_and_b32_e32 v29, 0xffff0000, v3
	v_lshlrev_b32_e32 v28, 16, v3
	v_fmac_f32_e32 v32, v26, v26
	v_fmac_f32_e32 v32, v27, v27
	v_pk_mul_f32 v[30:31], v[28:29], v[28:29]
	v_add_f32_e32 v30, v32, v30
	v_add_f32_e32 v30, v30, v31
	s_nop 1
	v_mov_b32_dpp v31, v30 quad_perm:[1,0,3,2] row_mask:0xf bank_mask:0xf
	v_add_f32_e32 v30, v30, v31
	s_nop 1
	v_mov_b32_dpp v31, v30 quad_perm:[2,3,0,1] row_mask:0xf bank_mask:0xf
	v_add_f32_e32 v30, v30, v31
	s_nop 1
	v_mov_b32_dpp v31, v30 row_half_mirror row_mask:0xf bank_mask:0xf
	v_add_f32_e32 v30, v30, v31
	s_nop 1
	v_mov_b32_dpp v31, v30 row_mirror row_mask:0xf bank_mask:0xf
	v_add_f32_e32 v30, v30, v31
	s_nop 1
	v_mov_b32_dpp v31, v30 row_bcast:15 row_mask:0xf bank_mask:0xf
	v_add_f32_e32 v30, v30, v31
	s_nop 1
	v_mov_b32_dpp v31, v30 row_bcast:31 row_mask:0xf bank_mask:0xf
	v_add_f32_e32 v30, v30, v31
	ds_bpermute_b32 v30, v21, v30
	s_waitcnt lgkmcnt(0)
	v_div_scale_f32 v31, s[0:1], v20, v20, v30
	v_rcp_f32_e32 v32, v31
	s_and_b32 s1, s15, 0xffff
	s_mov_b32 s0, s14
	v_fma_f32 v33, -v31, v32, 1.0
	v_fmac_f32_e32 v32, v33, v32
	v_div_scale_f32 v33, vcc, v30, v20, v30
	v_mul_f32_e32 v34, v33, v32
	v_fma_f32 v35, -v31, v34, v33
	v_fmac_f32_e32 v34, v35, v32
	v_fma_f32 v31, -v31, v34, v33
	v_div_fmas_f32 v31, v31, v32, v34
	v_div_fixup_f32 v30, v31, v20, v30
	v_add_f32_e32 v30, v18, v30
	v_mul_f32_e32 v31, 0x4b800000, v30
	v_cmp_gt_f32_e32 vcc, s12, v30
	v_cndmask_b32_e32 v30, v30, v31, vcc
	v_rsq_f32_e32 v30, v30
	v_mul_f32_e32 v31, 0x45800000, v30
	v_cndmask_b32_e32 v30, v30, v31, vcc
	v_mov_b32_e32 v31, v30
	;;#ASMSTART
	v_pk_mul_f32 v[22:23], v[22:23], v[30:31]
	;;#ASMEND
	;;#ASMSTART
	v_pk_mul_f32 v[24:25], v[24:25], v[30:31]
	;;#ASMEND
	;; [unrolled: 3-line block ×8, first 2 shown]
	v_perm_b32 v22, v23, v22, s13
	v_perm_b32 v23, v25, v24, s13
	;; [unrolled: 1-line block ×4, first 2 shown]
	buffer_store_dwordx4 v[22:25], v19, s[0:3], 0 offen
	;;#ASMSTART
	s_nop 0
	;;#ASMEND
	s_branch .LBB2_2
.LBB2_7:                                ;   in Loop: Header=BB2_3 Depth=1
                                        ; implicit-def: $vgpr4_vgpr5_vgpr6_vgpr7
	s_cbranch_execz .LBB2_2
; %bb.8:                                ;   in Loop: Header=BB2_3 Depth=1
	s_waitcnt vmcnt(0)
	v_pk_mov_b32 v[6:7], v[2:3], v[2:3] op_sel:[0,1]
	v_pk_mov_b32 v[4:5], v[0:1], v[0:1] op_sel:[0,1]
	s_branch .LBB2_2
.LBB2_9:
	s_endpgm
	.section	.rodata,"a",@progbits
	.p2align	6, 0x0
	.amdhsa_kernel _ZN5aiter23fused_qk_rmsnorm_kernelItLi64ELi8ELb1ELi4EEEvPT_S2_PKS1_S4_S4_S4_ffiiiiiii
		.amdhsa_group_segment_fixed_size 0
		.amdhsa_private_segment_fixed_size 0
		.amdhsa_kernarg_size 84
		.amdhsa_user_sgpr_count 6
		.amdhsa_user_sgpr_private_segment_buffer 1
		.amdhsa_user_sgpr_dispatch_ptr 0
		.amdhsa_user_sgpr_queue_ptr 0
		.amdhsa_user_sgpr_kernarg_segment_ptr 1
		.amdhsa_user_sgpr_dispatch_id 0
		.amdhsa_user_sgpr_flat_scratch_init 0
		.amdhsa_user_sgpr_kernarg_preload_length 0
		.amdhsa_user_sgpr_kernarg_preload_offset 0
		.amdhsa_user_sgpr_private_segment_size 0
		.amdhsa_uses_dynamic_stack 0
		.amdhsa_system_sgpr_private_segment_wavefront_offset 0
		.amdhsa_system_sgpr_workgroup_id_x 1
		.amdhsa_system_sgpr_workgroup_id_y 1
		.amdhsa_system_sgpr_workgroup_id_z 0
		.amdhsa_system_sgpr_workgroup_info 0
		.amdhsa_system_vgpr_workitem_id 0
		.amdhsa_next_free_vgpr 36
		.amdhsa_next_free_sgpr 32
		.amdhsa_accum_offset 36
		.amdhsa_reserve_vcc 1
		.amdhsa_reserve_flat_scratch 0
		.amdhsa_float_round_mode_32 0
		.amdhsa_float_round_mode_16_64 0
		.amdhsa_float_denorm_mode_32 3
		.amdhsa_float_denorm_mode_16_64 3
		.amdhsa_dx10_clamp 1
		.amdhsa_ieee_mode 1
		.amdhsa_fp16_overflow 0
		.amdhsa_tg_split 0
		.amdhsa_exception_fp_ieee_invalid_op 0
		.amdhsa_exception_fp_denorm_src 0
		.amdhsa_exception_fp_ieee_div_zero 0
		.amdhsa_exception_fp_ieee_overflow 0
		.amdhsa_exception_fp_ieee_underflow 0
		.amdhsa_exception_fp_ieee_inexact 0
		.amdhsa_exception_int_div_zero 0
	.end_amdhsa_kernel
	.section	.text._ZN5aiter23fused_qk_rmsnorm_kernelItLi64ELi8ELb1ELi4EEEvPT_S2_PKS1_S4_S4_S4_ffiiiiiii,"axG",@progbits,_ZN5aiter23fused_qk_rmsnorm_kernelItLi64ELi8ELb1ELi4EEEvPT_S2_PKS1_S4_S4_S4_ffiiiiiii,comdat
.Lfunc_end2:
	.size	_ZN5aiter23fused_qk_rmsnorm_kernelItLi64ELi8ELb1ELi4EEEvPT_S2_PKS1_S4_S4_S4_ffiiiiiii, .Lfunc_end2-_ZN5aiter23fused_qk_rmsnorm_kernelItLi64ELi8ELb1ELi4EEEvPT_S2_PKS1_S4_S4_S4_ffiiiiiii
                                        ; -- End function
	.section	.AMDGPU.csdata,"",@progbits
; Kernel info:
; codeLenInByte = 1096
; NumSgprs: 36
; NumVgprs: 36
; NumAgprs: 0
; TotalNumVgprs: 36
; ScratchSize: 0
; MemoryBound: 0
; FloatMode: 240
; IeeeMode: 1
; LDSByteSize: 0 bytes/workgroup (compile time only)
; SGPRBlocks: 4
; VGPRBlocks: 4
; NumSGPRsForWavesPerEU: 36
; NumVGPRsForWavesPerEU: 36
; AccumOffset: 36
; Occupancy: 8
; WaveLimiterHint : 0
; COMPUTE_PGM_RSRC2:SCRATCH_EN: 0
; COMPUTE_PGM_RSRC2:USER_SGPR: 6
; COMPUTE_PGM_RSRC2:TRAP_HANDLER: 0
; COMPUTE_PGM_RSRC2:TGID_X_EN: 1
; COMPUTE_PGM_RSRC2:TGID_Y_EN: 1
; COMPUTE_PGM_RSRC2:TGID_Z_EN: 0
; COMPUTE_PGM_RSRC2:TIDIG_COMP_CNT: 0
; COMPUTE_PGM_RSRC3_GFX90A:ACCUM_OFFSET: 8
; COMPUTE_PGM_RSRC3_GFX90A:TG_SPLIT: 0
	.section	.text._ZN5aiter23fused_qk_rmsnorm_kernelIDF16_Li64ELi8ELb1ELi1EEEvPT_S2_PKS1_S4_S4_S4_ffiiiiiii,"axG",@progbits,_ZN5aiter23fused_qk_rmsnorm_kernelIDF16_Li64ELi8ELb1ELi1EEEvPT_S2_PKS1_S4_S4_S4_ffiiiiiii,comdat
	.protected	_ZN5aiter23fused_qk_rmsnorm_kernelIDF16_Li64ELi8ELb1ELi1EEEvPT_S2_PKS1_S4_S4_S4_ffiiiiiii ; -- Begin function _ZN5aiter23fused_qk_rmsnorm_kernelIDF16_Li64ELi8ELb1ELi1EEEvPT_S2_PKS1_S4_S4_S4_ffiiiiiii
	.globl	_ZN5aiter23fused_qk_rmsnorm_kernelIDF16_Li64ELi8ELb1ELi1EEEvPT_S2_PKS1_S4_S4_S4_ffiiiiiii
	.p2align	8
	.type	_ZN5aiter23fused_qk_rmsnorm_kernelIDF16_Li64ELi8ELb1ELi1EEEvPT_S2_PKS1_S4_S4_S4_ffiiiiiii,@function
_ZN5aiter23fused_qk_rmsnorm_kernelIDF16_Li64ELi8ELb1ELi1EEEvPT_S2_PKS1_S4_S4_S4_ffiiiiiii: ; @_ZN5aiter23fused_qk_rmsnorm_kernelIDF16_Li64ELi8ELb1ELi1EEEvPT_S2_PKS1_S4_S4_S4_ffiiiiiii
; %bb.0:
	s_load_dwordx8 s[8:15], s[4:5], 0x30
	s_mov_b32 s0, s7
	s_mov_b32 s7, 0
	s_waitcnt lgkmcnt(0)
	s_ashr_i32 s1, s10, 31
	v_mov_b32_e32 v2, s10
	v_mov_b32_e32 v3, s1
	v_cmp_ge_i64_e32 vcc, s[6:7], v[2:3]
	s_cbranch_vccnz .LBB3_2
; %bb.1:
	s_load_dwordx8 s[16:23], s[4:5], 0x0
	s_load_dwordx4 s[24:27], s[4:5], 0x20
	s_load_dword s2, s[4:5], 0x50
	s_cmp_eq_u32 s0, 0
	s_cselect_b64 vcc, -1, 0
	s_and_b64 s[0:1], vcc, exec
	v_mov_b32_e32 v2, s8
	s_cselect_b32 s8, s13, s14
	v_mov_b32_e32 v1, s9
	s_cselect_b32 s4, s11, s12
	s_waitcnt lgkmcnt(0)
	s_cselect_b32 s1, s21, s23
	s_cselect_b32 s5, s20, s22
	;; [unrolled: 1-line block ×7, first 2 shown]
	s_ashr_i32 s2, s8, 31
	s_mul_i32 s2, s2, s6
	s_mul_hi_u32 s3, s8, s6
	s_add_i32 s3, s3, s2
	s_mul_i32 s2, s8, s6
	s_lshl_b64 s[2:3], s[2:3], 1
	s_add_u32 s8, s5, s2
	s_addc_u32 s5, s1, s3
	s_add_i32 s1, s4, 1
	s_lshr_b32 s2, s1, 31
	s_add_i32 s1, s1, s2
	s_lshl_b32 s1, s1, 1
	s_and_b32 s2, s1, -4
	s_and_b32 s1, s9, 0xffff
	s_mov_b32 s3, 0x20000
	v_lshlrev_b32_e32 v23, 4, v0
	v_cndmask_b32_e32 v22, v1, v2, vcc
	s_and_b32 s9, s5, 0xffff
	s_mov_b32 s10, s2
	s_mov_b32 s11, s3
	buffer_load_dwordx4 v[0:3], v23, s[0:3], 0 offen
	buffer_load_dwordx4 v[4:7], v23, s[8:11], 0 offen glc slc
	v_mbcnt_lo_u32_b32 v8, -1, 0
	v_bfrev_b32_e32 v9, 0.5
	v_mbcnt_hi_u32_b32 v8, -1, v8
	v_lshl_or_b32 v9, v8, 2, v9
	v_cvt_f32_i32_e32 v24, s4
	s_ashr_i32 s4, s13, 31
	s_mul_hi_u32 s1, s13, s6
	s_mul_i32 s4, s4, s6
	s_add_i32 s1, s1, s4
	s_mov_b32 s8, 0x800000
	s_mul_i32 s0, s13, s6
	s_lshl_b64 s[0:1], s[0:1], 1
	s_add_u32 s0, s12, s0
	s_addc_u32 s1, s7, s1
	s_and_b32 s1, s1, 0xffff
	s_waitcnt vmcnt(1)
	v_cvt_f32_f16_e32 v8, v0
	s_waitcnt vmcnt(0)
	v_cvt_f32_f16_e32 v10, v4
	v_cvt_f32_f16_sdwa v11, v4 dst_sel:DWORD dst_unused:UNUSED_PAD src0_sel:WORD_1
	v_cvt_f32_f16_e32 v4, v5
	v_cvt_f32_f16_sdwa v5, v5 dst_sel:DWORD dst_unused:UNUSED_PAD src0_sel:WORD_1
	v_cvt_f32_f16_e32 v12, v6
	v_cvt_f32_f16_sdwa v13, v6 dst_sel:DWORD dst_unused:UNUSED_PAD src0_sel:WORD_1
	v_pk_mul_f32 v[14:15], v[10:11], v[10:11]
	v_cvt_f32_f16_e32 v6, v7
	v_cvt_f32_f16_sdwa v7, v7 dst_sel:DWORD dst_unused:UNUSED_PAD src0_sel:WORD_1
	v_pk_mul_f32 v[16:17], v[4:5], v[4:5]
	v_add_f32_e32 v14, v14, v15
	v_add_f32_e32 v14, v14, v16
	v_pk_mul_f32 v[18:19], v[12:13], v[12:13]
	v_add_f32_e32 v14, v14, v17
	v_add_f32_e32 v14, v14, v18
	;; [unrolled: 3-line block ×3, first 2 shown]
	v_add_f32_e32 v14, v14, v21
	s_nop 1
	v_mov_b32_dpp v15, v14 quad_perm:[1,0,3,2] row_mask:0xf bank_mask:0xf
	v_add_f32_e32 v14, v14, v15
	s_nop 1
	v_mov_b32_dpp v15, v14 quad_perm:[2,3,0,1] row_mask:0xf bank_mask:0xf
	v_add_f32_e32 v14, v14, v15
	s_nop 1
	v_mov_b32_dpp v15, v14 row_half_mirror row_mask:0xf bank_mask:0xf
	v_add_f32_e32 v14, v14, v15
	s_nop 1
	v_mov_b32_dpp v15, v14 row_mirror row_mask:0xf bank_mask:0xf
	v_add_f32_e32 v14, v14, v15
	s_nop 1
	v_mov_b32_dpp v15, v14 row_bcast:15 row_mask:0xf bank_mask:0xf
	v_add_f32_e32 v14, v14, v15
	s_nop 1
	v_mov_b32_dpp v15, v14 row_bcast:31 row_mask:0xf bank_mask:0xf
	v_add_f32_e32 v14, v14, v15
	ds_bpermute_b32 v15, v9, v14
	v_cvt_f32_f16_sdwa v9, v0 dst_sel:DWORD dst_unused:UNUSED_PAD src0_sel:WORD_1
	v_cvt_f32_f16_e32 v0, v1
	v_cvt_f32_f16_sdwa v1, v1 dst_sel:DWORD dst_unused:UNUSED_PAD src0_sel:WORD_1
	v_cvt_f32_f16_e32 v14, v2
	s_waitcnt lgkmcnt(0)
	v_div_scale_f32 v16, s[4:5], v24, v24, v15
	v_rcp_f32_e32 v17, v16
	v_div_scale_f32 v18, vcc, v15, v24, v15
	v_fma_f32 v19, -v16, v17, 1.0
	v_fmac_f32_e32 v17, v19, v17
	v_mul_f32_e32 v19, v18, v17
	v_fma_f32 v20, -v16, v19, v18
	v_fmac_f32_e32 v19, v20, v17
	v_fma_f32 v16, -v16, v19, v18
	v_div_fmas_f32 v16, v16, v17, v19
	v_div_fixup_f32 v15, v16, v24, v15
	v_add_f32_e32 v15, v22, v15
	v_mul_f32_e32 v16, 0x4b800000, v15
	v_cmp_gt_f32_e32 vcc, s8, v15
	v_cndmask_b32_e32 v15, v15, v16, vcc
	v_rsq_f32_e32 v16, v15
	v_cvt_f32_f16_sdwa v15, v2 dst_sel:DWORD dst_unused:UNUSED_PAD src0_sel:WORD_1
	v_cvt_f32_f16_e32 v2, v3
	v_cvt_f32_f16_sdwa v3, v3 dst_sel:DWORD dst_unused:UNUSED_PAD src0_sel:WORD_1
	v_mul_f32_e32 v17, 0x45800000, v16
	v_cndmask_b32_e32 v16, v16, v17, vcc
	v_mov_b32_e32 v17, v16
	;;#ASMSTART
	v_pk_mul_f32 v[10:11], v[10:11], v[16:17]
	;;#ASMEND
	;;#ASMSTART
	v_pk_mul_f32 v[4:5], v[4:5], v[16:17]
	;;#ASMEND
	;; [unrolled: 3-line block ×8, first 2 shown]
	v_cvt_f16_f32_e32 v6, v8
	v_cvt_f16_f32_e32 v7, v9
	;; [unrolled: 1-line block ×8, first 2 shown]
	v_pack_b32_f16 v0, v6, v7
	v_pack_b32_f16 v1, v8, v1
	;; [unrolled: 1-line block ×4, first 2 shown]
	buffer_store_dwordx4 v[0:3], v23, s[0:3], 0 offen
	;;#ASMSTART
	s_nop 0
	;;#ASMEND
.LBB3_2:
	s_endpgm
	.section	.rodata,"a",@progbits
	.p2align	6, 0x0
	.amdhsa_kernel _ZN5aiter23fused_qk_rmsnorm_kernelIDF16_Li64ELi8ELb1ELi1EEEvPT_S2_PKS1_S4_S4_S4_ffiiiiiii
		.amdhsa_group_segment_fixed_size 0
		.amdhsa_private_segment_fixed_size 0
		.amdhsa_kernarg_size 84
		.amdhsa_user_sgpr_count 6
		.amdhsa_user_sgpr_private_segment_buffer 1
		.amdhsa_user_sgpr_dispatch_ptr 0
		.amdhsa_user_sgpr_queue_ptr 0
		.amdhsa_user_sgpr_kernarg_segment_ptr 1
		.amdhsa_user_sgpr_dispatch_id 0
		.amdhsa_user_sgpr_flat_scratch_init 0
		.amdhsa_user_sgpr_kernarg_preload_length 0
		.amdhsa_user_sgpr_kernarg_preload_offset 0
		.amdhsa_user_sgpr_private_segment_size 0
		.amdhsa_uses_dynamic_stack 0
		.amdhsa_system_sgpr_private_segment_wavefront_offset 0
		.amdhsa_system_sgpr_workgroup_id_x 1
		.amdhsa_system_sgpr_workgroup_id_y 1
		.amdhsa_system_sgpr_workgroup_id_z 0
		.amdhsa_system_sgpr_workgroup_info 0
		.amdhsa_system_vgpr_workitem_id 0
		.amdhsa_next_free_vgpr 25
		.amdhsa_next_free_sgpr 28
		.amdhsa_accum_offset 28
		.amdhsa_reserve_vcc 1
		.amdhsa_reserve_flat_scratch 0
		.amdhsa_float_round_mode_32 0
		.amdhsa_float_round_mode_16_64 0
		.amdhsa_float_denorm_mode_32 3
		.amdhsa_float_denorm_mode_16_64 3
		.amdhsa_dx10_clamp 1
		.amdhsa_ieee_mode 1
		.amdhsa_fp16_overflow 0
		.amdhsa_tg_split 0
		.amdhsa_exception_fp_ieee_invalid_op 0
		.amdhsa_exception_fp_denorm_src 0
		.amdhsa_exception_fp_ieee_div_zero 0
		.amdhsa_exception_fp_ieee_overflow 0
		.amdhsa_exception_fp_ieee_underflow 0
		.amdhsa_exception_fp_ieee_inexact 0
		.amdhsa_exception_int_div_zero 0
	.end_amdhsa_kernel
	.section	.text._ZN5aiter23fused_qk_rmsnorm_kernelIDF16_Li64ELi8ELb1ELi1EEEvPT_S2_PKS1_S4_S4_S4_ffiiiiiii,"axG",@progbits,_ZN5aiter23fused_qk_rmsnorm_kernelIDF16_Li64ELi8ELb1ELi1EEEvPT_S2_PKS1_S4_S4_S4_ffiiiiiii,comdat
.Lfunc_end3:
	.size	_ZN5aiter23fused_qk_rmsnorm_kernelIDF16_Li64ELi8ELb1ELi1EEEvPT_S2_PKS1_S4_S4_S4_ffiiiiiii, .Lfunc_end3-_ZN5aiter23fused_qk_rmsnorm_kernelIDF16_Li64ELi8ELb1ELi1EEEvPT_S2_PKS1_S4_S4_S4_ffiiiiiii
                                        ; -- End function
	.section	.AMDGPU.csdata,"",@progbits
; Kernel info:
; codeLenInByte = 844
; NumSgprs: 32
; NumVgprs: 25
; NumAgprs: 0
; TotalNumVgprs: 25
; ScratchSize: 0
; MemoryBound: 0
; FloatMode: 240
; IeeeMode: 1
; LDSByteSize: 0 bytes/workgroup (compile time only)
; SGPRBlocks: 3
; VGPRBlocks: 3
; NumSGPRsForWavesPerEU: 32
; NumVGPRsForWavesPerEU: 25
; AccumOffset: 28
; Occupancy: 8
; WaveLimiterHint : 0
; COMPUTE_PGM_RSRC2:SCRATCH_EN: 0
; COMPUTE_PGM_RSRC2:USER_SGPR: 6
; COMPUTE_PGM_RSRC2:TRAP_HANDLER: 0
; COMPUTE_PGM_RSRC2:TGID_X_EN: 1
; COMPUTE_PGM_RSRC2:TGID_Y_EN: 1
; COMPUTE_PGM_RSRC2:TGID_Z_EN: 0
; COMPUTE_PGM_RSRC2:TIDIG_COMP_CNT: 0
; COMPUTE_PGM_RSRC3_GFX90A:ACCUM_OFFSET: 6
; COMPUTE_PGM_RSRC3_GFX90A:TG_SPLIT: 0
	.section	.text._ZN5aiter23fused_qk_rmsnorm_kernelItLi64ELi8ELb1ELi1EEEvPT_S2_PKS1_S4_S4_S4_ffiiiiiii,"axG",@progbits,_ZN5aiter23fused_qk_rmsnorm_kernelItLi64ELi8ELb1ELi1EEEvPT_S2_PKS1_S4_S4_S4_ffiiiiiii,comdat
	.protected	_ZN5aiter23fused_qk_rmsnorm_kernelItLi64ELi8ELb1ELi1EEEvPT_S2_PKS1_S4_S4_S4_ffiiiiiii ; -- Begin function _ZN5aiter23fused_qk_rmsnorm_kernelItLi64ELi8ELb1ELi1EEEvPT_S2_PKS1_S4_S4_S4_ffiiiiiii
	.globl	_ZN5aiter23fused_qk_rmsnorm_kernelItLi64ELi8ELb1ELi1EEEvPT_S2_PKS1_S4_S4_S4_ffiiiiiii
	.p2align	8
	.type	_ZN5aiter23fused_qk_rmsnorm_kernelItLi64ELi8ELb1ELi1EEEvPT_S2_PKS1_S4_S4_S4_ffiiiiiii,@function
_ZN5aiter23fused_qk_rmsnorm_kernelItLi64ELi8ELb1ELi1EEEvPT_S2_PKS1_S4_S4_S4_ffiiiiiii: ; @_ZN5aiter23fused_qk_rmsnorm_kernelItLi64ELi8ELb1ELi1EEEvPT_S2_PKS1_S4_S4_S4_ffiiiiiii
; %bb.0:
	s_load_dwordx8 s[8:15], s[4:5], 0x30
	s_mov_b32 s0, s7
	s_mov_b32 s7, 0
	s_waitcnt lgkmcnt(0)
	s_ashr_i32 s1, s10, 31
	v_mov_b32_e32 v2, s10
	v_mov_b32_e32 v3, s1
	v_cmp_ge_i64_e32 vcc, s[6:7], v[2:3]
	s_cbranch_vccnz .LBB4_2
; %bb.1:
	s_load_dwordx8 s[16:23], s[4:5], 0x0
	s_load_dwordx4 s[24:27], s[4:5], 0x20
	s_load_dword s2, s[4:5], 0x50
	s_cmp_eq_u32 s0, 0
	s_cselect_b64 vcc, -1, 0
	s_and_b64 s[0:1], vcc, exec
	v_mov_b32_e32 v2, s8
	s_cselect_b32 s8, s13, s14
	v_mov_b32_e32 v1, s9
	s_cselect_b32 s4, s11, s12
	s_waitcnt lgkmcnt(0)
	s_cselect_b32 s1, s21, s23
	s_cselect_b32 s5, s20, s22
	;; [unrolled: 1-line block ×7, first 2 shown]
	s_ashr_i32 s2, s8, 31
	s_mul_i32 s2, s2, s6
	s_mul_hi_u32 s3, s8, s6
	s_add_i32 s3, s3, s2
	s_mul_i32 s2, s8, s6
	s_lshl_b64 s[2:3], s[2:3], 1
	s_add_u32 s8, s5, s2
	s_addc_u32 s5, s1, s3
	s_add_i32 s1, s4, 1
	s_lshr_b32 s2, s1, 31
	s_add_i32 s1, s1, s2
	s_lshl_b32 s1, s1, 1
	s_and_b32 s2, s1, -4
	s_and_b32 s1, s9, 0xffff
	s_mov_b32 s3, 0x20000
	v_lshlrev_b32_e32 v23, 4, v0
	v_cndmask_b32_e32 v22, v1, v2, vcc
	s_and_b32 s9, s5, 0xffff
	s_mov_b32 s10, s2
	s_mov_b32 s11, s3
	buffer_load_dwordx4 v[0:3], v23, s[0:3], 0 offen
	buffer_load_dwordx4 v[4:7], v23, s[8:11], 0 offen glc slc
	v_mbcnt_lo_u32_b32 v8, -1, 0
	v_bfrev_b32_e32 v9, 0.5
	v_mbcnt_hi_u32_b32 v8, -1, v8
	v_lshl_or_b32 v8, v8, 2, v9
	v_cvt_f32_i32_e32 v24, s4
	s_ashr_i32 s4, s13, 31
	s_mul_hi_u32 s1, s13, s6
	s_mul_i32 s4, s4, s6
	s_add_i32 s1, s1, s4
	s_mov_b32 s8, 0x800000
	s_mul_i32 s0, s13, s6
	s_lshl_b64 s[0:1], s[0:1], 1
	s_add_u32 s0, s12, s0
	s_mov_b32 s9, 0x7060302
	s_addc_u32 s1, s7, s1
	s_and_b32 s1, s1, 0xffff
	s_waitcnt vmcnt(1)
	v_cvt_f32_u32_sdwa v9, v0 dst_sel:DWORD dst_unused:UNUSED_PAD src0_sel:WORD_1
	s_waitcnt vmcnt(0)
	v_and_b32_e32 v11, 0xffff0000, v4
	v_lshlrev_b32_e32 v10, 16, v4
	v_and_b32_e32 v13, 0xffff0000, v5
	v_lshlrev_b32_e32 v12, 16, v5
	;; [unrolled: 2-line block ×4, first 2 shown]
	v_pk_mul_f32 v[6:7], v[10:11], v[10:11]
	v_pk_mul_f32 v[16:17], v[12:13], v[12:13]
	v_add_f32_e32 v6, v6, v7
	v_add_f32_e32 v6, v6, v16
	v_pk_mul_f32 v[18:19], v[4:5], v[4:5]
	v_add_f32_e32 v6, v6, v17
	v_add_f32_e32 v6, v6, v18
	;; [unrolled: 3-line block ×3, first 2 shown]
	v_add_f32_e32 v6, v6, v21
	s_nop 1
	v_mov_b32_dpp v7, v6 quad_perm:[1,0,3,2] row_mask:0xf bank_mask:0xf
	v_add_f32_e32 v6, v6, v7
	s_nop 1
	v_mov_b32_dpp v7, v6 quad_perm:[2,3,0,1] row_mask:0xf bank_mask:0xf
	v_add_f32_e32 v6, v6, v7
	s_nop 1
	v_mov_b32_dpp v7, v6 row_half_mirror row_mask:0xf bank_mask:0xf
	v_add_f32_e32 v6, v6, v7
	s_nop 1
	v_mov_b32_dpp v7, v6 row_mirror row_mask:0xf bank_mask:0xf
	v_add_f32_e32 v6, v6, v7
	s_nop 1
	v_mov_b32_dpp v7, v6 row_bcast:15 row_mask:0xf bank_mask:0xf
	v_add_f32_e32 v6, v6, v7
	s_nop 1
	v_mov_b32_dpp v7, v6 row_bcast:31 row_mask:0xf bank_mask:0xf
	v_add_f32_e32 v6, v6, v7
	ds_bpermute_b32 v16, v8, v6
	v_cvt_f32_u32_sdwa v8, v0 dst_sel:DWORD dst_unused:UNUSED_PAD src0_sel:WORD_0
	v_cvt_f32_u32_sdwa v7, v1 dst_sel:DWORD dst_unused:UNUSED_PAD src0_sel:WORD_1
	v_cvt_f32_u32_sdwa v6, v1 dst_sel:DWORD dst_unused:UNUSED_PAD src0_sel:WORD_0
	v_cvt_f32_u32_sdwa v1, v2 dst_sel:DWORD dst_unused:UNUSED_PAD src0_sel:WORD_1
	s_waitcnt lgkmcnt(0)
	v_div_scale_f32 v0, s[4:5], v24, v24, v16
	v_rcp_f32_e32 v17, v0
	v_div_scale_f32 v18, vcc, v16, v24, v16
	v_fma_f32 v19, -v0, v17, 1.0
	v_fmac_f32_e32 v17, v19, v17
	v_mul_f32_e32 v19, v18, v17
	v_fma_f32 v20, -v0, v19, v18
	v_fmac_f32_e32 v19, v20, v17
	v_fma_f32 v0, -v0, v19, v18
	v_div_fmas_f32 v0, v0, v17, v19
	v_div_fixup_f32 v0, v0, v24, v16
	v_add_f32_e32 v0, v22, v0
	v_mul_f32_e32 v16, 0x4b800000, v0
	v_cmp_gt_f32_e32 vcc, s8, v0
	v_cndmask_b32_e32 v0, v0, v16, vcc
	v_rsq_f32_e32 v18, v0
	v_cvt_f32_u32_sdwa v0, v2 dst_sel:DWORD dst_unused:UNUSED_PAD src0_sel:WORD_0
	v_cvt_f32_u32_sdwa v17, v3 dst_sel:DWORD dst_unused:UNUSED_PAD src0_sel:WORD_1
	v_cvt_f32_u32_sdwa v16, v3 dst_sel:DWORD dst_unused:UNUSED_PAD src0_sel:WORD_0
	v_mul_f32_e32 v2, 0x45800000, v18
	v_cndmask_b32_e32 v2, v18, v2, vcc
	v_mov_b32_e32 v3, v2
	;;#ASMSTART
	v_pk_mul_f32 v[10:11], v[10:11], v[2:3]
	;;#ASMEND
	;;#ASMSTART
	v_pk_mul_f32 v[12:13], v[12:13], v[2:3]
	;;#ASMEND
	;; [unrolled: 3-line block ×8, first 2 shown]
	v_perm_b32 v0, v9, v8, s9
	v_perm_b32 v1, v7, v6, s9
	;; [unrolled: 1-line block ×4, first 2 shown]
	buffer_store_dwordx4 v[0:3], v23, s[0:3], 0 offen
	;;#ASMSTART
	s_nop 0
	;;#ASMEND
.LBB4_2:
	s_endpgm
	.section	.rodata,"a",@progbits
	.p2align	6, 0x0
	.amdhsa_kernel _ZN5aiter23fused_qk_rmsnorm_kernelItLi64ELi8ELb1ELi1EEEvPT_S2_PKS1_S4_S4_S4_ffiiiiiii
		.amdhsa_group_segment_fixed_size 0
		.amdhsa_private_segment_fixed_size 0
		.amdhsa_kernarg_size 84
		.amdhsa_user_sgpr_count 6
		.amdhsa_user_sgpr_private_segment_buffer 1
		.amdhsa_user_sgpr_dispatch_ptr 0
		.amdhsa_user_sgpr_queue_ptr 0
		.amdhsa_user_sgpr_kernarg_segment_ptr 1
		.amdhsa_user_sgpr_dispatch_id 0
		.amdhsa_user_sgpr_flat_scratch_init 0
		.amdhsa_user_sgpr_kernarg_preload_length 0
		.amdhsa_user_sgpr_kernarg_preload_offset 0
		.amdhsa_user_sgpr_private_segment_size 0
		.amdhsa_uses_dynamic_stack 0
		.amdhsa_system_sgpr_private_segment_wavefront_offset 0
		.amdhsa_system_sgpr_workgroup_id_x 1
		.amdhsa_system_sgpr_workgroup_id_y 1
		.amdhsa_system_sgpr_workgroup_id_z 0
		.amdhsa_system_sgpr_workgroup_info 0
		.amdhsa_system_vgpr_workitem_id 0
		.amdhsa_next_free_vgpr 25
		.amdhsa_next_free_sgpr 28
		.amdhsa_accum_offset 28
		.amdhsa_reserve_vcc 1
		.amdhsa_reserve_flat_scratch 0
		.amdhsa_float_round_mode_32 0
		.amdhsa_float_round_mode_16_64 0
		.amdhsa_float_denorm_mode_32 3
		.amdhsa_float_denorm_mode_16_64 3
		.amdhsa_dx10_clamp 1
		.amdhsa_ieee_mode 1
		.amdhsa_fp16_overflow 0
		.amdhsa_tg_split 0
		.amdhsa_exception_fp_ieee_invalid_op 0
		.amdhsa_exception_fp_denorm_src 0
		.amdhsa_exception_fp_ieee_div_zero 0
		.amdhsa_exception_fp_ieee_overflow 0
		.amdhsa_exception_fp_ieee_underflow 0
		.amdhsa_exception_fp_ieee_inexact 0
		.amdhsa_exception_int_div_zero 0
	.end_amdhsa_kernel
	.section	.text._ZN5aiter23fused_qk_rmsnorm_kernelItLi64ELi8ELb1ELi1EEEvPT_S2_PKS1_S4_S4_S4_ffiiiiiii,"axG",@progbits,_ZN5aiter23fused_qk_rmsnorm_kernelItLi64ELi8ELb1ELi1EEEvPT_S2_PKS1_S4_S4_S4_ffiiiiiii,comdat
.Lfunc_end4:
	.size	_ZN5aiter23fused_qk_rmsnorm_kernelItLi64ELi8ELb1ELi1EEEvPT_S2_PKS1_S4_S4_S4_ffiiiiiii, .Lfunc_end4-_ZN5aiter23fused_qk_rmsnorm_kernelItLi64ELi8ELb1ELi1EEEvPT_S2_PKS1_S4_S4_S4_ffiiiiiii
                                        ; -- End function
	.section	.AMDGPU.csdata,"",@progbits
; Kernel info:
; codeLenInByte = 836
; NumSgprs: 32
; NumVgprs: 25
; NumAgprs: 0
; TotalNumVgprs: 25
; ScratchSize: 0
; MemoryBound: 0
; FloatMode: 240
; IeeeMode: 1
; LDSByteSize: 0 bytes/workgroup (compile time only)
; SGPRBlocks: 3
; VGPRBlocks: 3
; NumSGPRsForWavesPerEU: 32
; NumVGPRsForWavesPerEU: 25
; AccumOffset: 28
; Occupancy: 8
; WaveLimiterHint : 0
; COMPUTE_PGM_RSRC2:SCRATCH_EN: 0
; COMPUTE_PGM_RSRC2:USER_SGPR: 6
; COMPUTE_PGM_RSRC2:TRAP_HANDLER: 0
; COMPUTE_PGM_RSRC2:TGID_X_EN: 1
; COMPUTE_PGM_RSRC2:TGID_Y_EN: 1
; COMPUTE_PGM_RSRC2:TGID_Z_EN: 0
; COMPUTE_PGM_RSRC2:TIDIG_COMP_CNT: 0
; COMPUTE_PGM_RSRC3_GFX90A:ACCUM_OFFSET: 6
; COMPUTE_PGM_RSRC3_GFX90A:TG_SPLIT: 0
	.section	.text._ZN5aiter23fused_qk_rmsnorm_kernelIDF16_Li128ELi8ELb1ELi4EEEvPT_S2_PKS1_S4_S4_S4_ffiiiiiii,"axG",@progbits,_ZN5aiter23fused_qk_rmsnorm_kernelIDF16_Li128ELi8ELb1ELi4EEEvPT_S2_PKS1_S4_S4_S4_ffiiiiiii,comdat
	.protected	_ZN5aiter23fused_qk_rmsnorm_kernelIDF16_Li128ELi8ELb1ELi4EEEvPT_S2_PKS1_S4_S4_S4_ffiiiiiii ; -- Begin function _ZN5aiter23fused_qk_rmsnorm_kernelIDF16_Li128ELi8ELb1ELi4EEEvPT_S2_PKS1_S4_S4_S4_ffiiiiiii
	.globl	_ZN5aiter23fused_qk_rmsnorm_kernelIDF16_Li128ELi8ELb1ELi4EEEvPT_S2_PKS1_S4_S4_S4_ffiiiiiii
	.p2align	8
	.type	_ZN5aiter23fused_qk_rmsnorm_kernelIDF16_Li128ELi8ELb1ELi4EEEvPT_S2_PKS1_S4_S4_S4_ffiiiiiii,@function
_ZN5aiter23fused_qk_rmsnorm_kernelIDF16_Li128ELi8ELb1ELi4EEEvPT_S2_PKS1_S4_S4_S4_ffiiiiiii: ; @_ZN5aiter23fused_qk_rmsnorm_kernelIDF16_Li128ELi8ELb1ELi4EEEvPT_S2_PKS1_S4_S4_S4_ffiiiiiii
; %bb.0:
	s_load_dwordx8 s[8:15], s[4:5], 0x30
	s_mov_b32 s0, s7
	s_mov_b32 s7, 0
	s_lshl_b64 s[16:17], s[6:7], 2
	s_waitcnt lgkmcnt(0)
	s_ashr_i32 s19, s10, 31
	s_mov_b32 s18, s10
	v_pk_mov_b32 v[2:3], s[18:19], s[18:19] op_sel:[0,1]
	v_cmp_ge_i64_e32 vcc, s[16:17], v[2:3]
	s_cbranch_vccnz .LBB5_11
; %bb.1:
	s_load_dwordx8 s[20:27], s[4:5], 0x0
	s_load_dwordx4 s[28:31], s[4:5], 0x20
	s_load_dword s3, s[4:5], 0x50
	s_cmp_eq_u32 s0, 0
	s_cselect_b64 vcc, -1, 0
	s_and_b64 s[0:1], vcc, exec
	s_cselect_b32 s2, s13, s14
	v_mov_b32_e32 v2, s8
	s_cselect_b32 s5, s11, s12
	s_waitcnt lgkmcnt(0)
	s_cselect_b32 s25, s25, s27
	s_cselect_b32 s24, s24, s26
	;; [unrolled: 1-line block ×7, first 2 shown]
	s_ashr_i32 s3, s2, 31
	s_mul_i32 s0, s16, s3
	s_mul_hi_u32 s1, s16, s2
	s_add_i32 s0, s1, s0
	s_mul_i32 s1, s17, s2
	s_add_i32 s1, s0, s1
	s_mul_i32 s0, s16, s2
	s_lshl_b64 s[0:1], s[0:1], 1
	s_add_u32 s12, s24, s0
	s_addc_u32 s0, s25, s1
	s_add_i32 s1, s5, 1
	v_mov_b32_e32 v1, s9
	s_lshr_b32 s9, s1, 31
	s_add_i32 s1, s1, s9
	s_lshl_b32 s1, s1, 1
	s_and_b32 s10, s1, -4
	s_and_b32 s9, s7, 0xffff
	s_mov_b32 s11, 0x20000
	v_lshlrev_b32_e32 v27, 4, v0
	buffer_load_dwordx4 v[6:9], v27, s[8:11], 0 offen
	s_and_b32 s13, s0, 0xffff
	s_mov_b32 s14, s10
	s_mov_b32 s15, s11
	v_cndmask_b32_e32 v26, v1, v2, vcc
	buffer_load_dwordx4 v[2:5], v27, s[12:15], 0 offen glc slc
	v_cvt_f32_i32_e32 v30, s5
	s_ashr_i32 s5, s4, 31
	s_mul_hi_u32 s7, s4, s6
	s_mul_i32 s8, s4, s6
	s_mul_i32 s6, s5, s6
	s_add_i32 s9, s7, s6
	s_lshl_b64 s[6:7], s[8:9], 3
	s_add_u32 s14, s20, s6
	s_addc_u32 s15, s21, s7
	s_lshl_b64 s[4:5], s[4:5], 1
	s_add_u32 s6, s16, 1
	s_addc_u32 s7, s17, 0
	s_mul_hi_u32 s8, s6, s2
	s_mul_i32 s9, s6, s3
	v_and_b32_e32 v1, 63, v0
	v_lshrrev_b32_e32 v10, 4, v0
	v_and_b32_e32 v0, 1, v0
	s_add_i32 s8, s8, s9
	s_mul_i32 s7, s7, s2
	v_cmp_eq_u32_e64 s[0:1], 63, v1
	v_and_b32_e32 v28, 60, v10
	v_lshlrev_b32_e32 v29, 2, v0
	s_mul_i32 s6, s6, s2
	s_add_i32 s7, s8, s7
	s_lshl_b64 s[6:7], s[6:7], 1
	s_add_u32 s20, s24, s6
	s_addc_u32 s21, s25, s7
	s_lshl_b64 s[6:7], s[2:3], 1
	s_mov_b64 s[12:13], 0
	v_pk_mov_b32 v[16:17], s[18:19], s[18:19] op_sel:[0,1]
	s_mov_b32 s22, 0x800000
	s_waitcnt vmcnt(1)
	v_cvt_f32_f16_e32 v0, v6
	v_cvt_f32_f16_sdwa v1, v6 dst_sel:DWORD dst_unused:UNUSED_PAD src0_sel:WORD_1
	v_cvt_f32_f16_e32 v10, v7
	v_cvt_f32_f16_sdwa v11, v7 dst_sel:DWORD dst_unused:UNUSED_PAD src0_sel:WORD_1
	v_cvt_f32_f16_e32 v12, v8
	v_cvt_f32_f16_sdwa v13, v8 dst_sel:DWORD dst_unused:UNUSED_PAD src0_sel:WORD_1
	v_cvt_f32_f16_e32 v14, v9
	v_cvt_f32_f16_sdwa v15, v9 dst_sel:DWORD dst_unused:UNUSED_PAD src0_sel:WORD_1
	s_branch .LBB5_3
.LBB5_2:                                ;   in Loop: Header=BB5_3 Depth=1
	s_cmp_eq_u32 s12, 3
	s_cselect_b64 s[8:9], -1, 0
	s_or_b64 s[2:3], s[2:3], s[8:9]
	s_add_u32 s12, s12, 1
	s_addc_u32 s13, s13, 0
	s_add_u32 s14, s14, s4
	s_addc_u32 s15, s15, s5
	s_add_u32 s20, s20, s6
	s_waitcnt vmcnt(0)
	v_pk_mov_b32 v[2:3], v[6:7], v[6:7] op_sel:[0,1]
	s_addc_u32 s21, s21, s7
	s_andn2_b64 vcc, exec, s[2:3]
	v_pk_mov_b32 v[4:5], v[8:9], v[8:9] op_sel:[0,1]
	s_cbranch_vccz .LBB5_11
.LBB5_3:                                ; =>This Inner Loop Header: Depth=1
	s_add_u32 s8, s16, s12
	s_addc_u32 s9, s17, s13
	v_cmp_lt_i64_e32 vcc, s[8:9], v[16:17]
	v_cmp_ge_i64_e64 s[2:3], s[8:9], v[16:17]
	s_cbranch_vccz .LBB5_9
; %bb.4:                                ;   in Loop: Header=BB5_3 Depth=1
	s_cmp_lg_u32 s12, 3
	s_cselect_b64 s[24:25], -1, 0
	s_add_u32 s8, s8, 1
	s_addc_u32 s9, s9, 0
	v_pk_mov_b32 v[6:7], s[18:19], s[18:19] op_sel:[0,1]
	v_cmp_lt_i64_e32 vcc, s[8:9], v[6:7]
	s_and_b64 s[8:9], s[24:25], vcc
	s_waitcnt vmcnt(0)
	v_pk_mov_b32 v[8:9], v[4:5], v[4:5] op_sel:[0,1]
	s_andn2_b64 vcc, exec, s[8:9]
	v_pk_mov_b32 v[6:7], v[2:3], v[2:3] op_sel:[0,1]
	s_cbranch_vccnz .LBB5_6
; %bb.5:                                ;   in Loop: Header=BB5_3 Depth=1
	s_and_b32 s9, s21, 0xffff
	s_mov_b32 s8, s20
	buffer_load_dwordx4 v[6:9], v27, s[8:11], 0 offen glc slc
.LBB5_6:                                ;   in Loop: Header=BB5_3 Depth=1
	v_cvt_f32_f16_sdwa v19, v2 dst_sel:DWORD dst_unused:UNUSED_PAD src0_sel:WORD_1
	v_cvt_f32_f16_e32 v18, v2
	v_cvt_f32_f16_sdwa v21, v3 dst_sel:DWORD dst_unused:UNUSED_PAD src0_sel:WORD_1
	v_cvt_f32_f16_e32 v20, v3
	;; [unrolled: 2-line block ×3, first 2 shown]
	v_pk_mul_f32 v[32:33], v[18:19], v[18:19]
	v_cvt_f32_f16_sdwa v25, v5 dst_sel:DWORD dst_unused:UNUSED_PAD src0_sel:WORD_1
	v_cvt_f32_f16_e32 v24, v5
	v_pk_mul_f32 v[34:35], v[20:21], v[20:21]
	v_add_f32_e32 v31, v32, v33
	v_add_f32_e32 v31, v31, v34
	v_pk_mul_f32 v[36:37], v[22:23], v[22:23]
	v_add_f32_e32 v31, v31, v35
	v_add_f32_e32 v31, v31, v36
	v_pk_mul_f32 v[38:39], v[24:25], v[24:25]
	v_add_f32_e32 v31, v31, v37
	v_add_f32_e32 v31, v31, v38
	v_add_f32_e32 v31, v31, v39
	s_nop 1
	v_mov_b32_dpp v32, v31 quad_perm:[1,0,3,2] row_mask:0xf bank_mask:0xf
	v_add_f32_e32 v31, v31, v32
	s_nop 1
	v_mov_b32_dpp v32, v31 quad_perm:[2,3,0,1] row_mask:0xf bank_mask:0xf
	v_add_f32_e32 v31, v31, v32
	s_nop 1
	v_mov_b32_dpp v32, v31 row_half_mirror row_mask:0xf bank_mask:0xf
	v_add_f32_e32 v31, v31, v32
	s_nop 1
	v_mov_b32_dpp v32, v31 row_mirror row_mask:0xf bank_mask:0xf
	v_add_f32_e32 v31, v31, v32
	s_nop 1
	v_mov_b32_dpp v32, v31 row_bcast:15 row_mask:0xf bank_mask:0xf
	v_add_f32_e32 v31, v31, v32
	s_nop 1
	v_mov_b32_dpp v32, v31 row_bcast:31 row_mask:0xf bank_mask:0xf
	s_and_saveexec_b64 s[8:9], s[0:1]
	s_cbranch_execz .LBB5_8
; %bb.7:                                ;   in Loop: Header=BB5_3 Depth=1
	v_add_f32_e32 v31, v31, v32
	ds_write_b32 v28, v31
.LBB5_8:                                ;   in Loop: Header=BB5_3 Depth=1
	s_or_b64 exec, exec, s[8:9]
	s_waitcnt lgkmcnt(0)
	s_barrier
	ds_read_b32 v31, v29
	s_waitcnt lgkmcnt(0)
	s_nop 0
	v_mov_b32_dpp v32, v31 quad_perm:[1,0,3,2] row_mask:0xf bank_mask:0xf
	v_add_f32_e32 v31, v31, v32
	v_div_scale_f32 v32, s[8:9], v30, v30, v31
	v_rcp_f32_e32 v33, v32
	v_div_scale_f32 v34, vcc, v31, v30, v31
	s_and_b32 s9, s15, 0xffff
	v_fma_f32 v35, -v32, v33, 1.0
	v_fmac_f32_e32 v33, v35, v33
	v_mul_f32_e32 v35, v34, v33
	v_fma_f32 v36, -v32, v35, v34
	v_fmac_f32_e32 v35, v36, v33
	v_fma_f32 v32, -v32, v35, v34
	v_div_fmas_f32 v32, v32, v33, v35
	v_div_fixup_f32 v31, v32, v30, v31
	v_add_f32_e32 v31, v26, v31
	v_mul_f32_e32 v32, 0x4b800000, v31
	v_cmp_gt_f32_e32 vcc, s22, v31
	v_cndmask_b32_e32 v31, v31, v32, vcc
	v_rsq_f32_e32 v31, v31
	s_mov_b32 s8, s14
	v_mul_f32_e32 v32, 0x45800000, v31
	v_cndmask_b32_e32 v32, v31, v32, vcc
	v_mov_b32_e32 v33, v32
	;;#ASMSTART
	v_pk_mul_f32 v[18:19], v[18:19], v[32:33]
	;;#ASMEND
	;;#ASMSTART
	v_pk_mul_f32 v[20:21], v[20:21], v[32:33]
	;;#ASMEND
	;; [unrolled: 3-line block ×8, first 2 shown]
	v_cvt_f16_f32_e32 v18, v18
	v_cvt_f16_f32_e32 v19, v19
	;; [unrolled: 1-line block ×8, first 2 shown]
	v_pack_b32_f16 v18, v18, v19
	v_pack_b32_f16 v19, v20, v21
	;; [unrolled: 1-line block ×4, first 2 shown]
	buffer_store_dwordx4 v[18:21], v27, s[8:11], 0 offen
	;;#ASMSTART
	s_nop 0
	;;#ASMEND
	s_branch .LBB5_2
.LBB5_9:                                ;   in Loop: Header=BB5_3 Depth=1
                                        ; implicit-def: $vgpr6_vgpr7_vgpr8_vgpr9
	s_cbranch_execz .LBB5_2
; %bb.10:                               ;   in Loop: Header=BB5_3 Depth=1
	s_waitcnt vmcnt(0)
	v_pk_mov_b32 v[8:9], v[4:5], v[4:5] op_sel:[0,1]
	v_pk_mov_b32 v[6:7], v[2:3], v[2:3] op_sel:[0,1]
	s_branch .LBB5_2
.LBB5_11:
	s_endpgm
	.section	.rodata,"a",@progbits
	.p2align	6, 0x0
	.amdhsa_kernel _ZN5aiter23fused_qk_rmsnorm_kernelIDF16_Li128ELi8ELb1ELi4EEEvPT_S2_PKS1_S4_S4_S4_ffiiiiiii
		.amdhsa_group_segment_fixed_size 8
		.amdhsa_private_segment_fixed_size 0
		.amdhsa_kernarg_size 84
		.amdhsa_user_sgpr_count 6
		.amdhsa_user_sgpr_private_segment_buffer 1
		.amdhsa_user_sgpr_dispatch_ptr 0
		.amdhsa_user_sgpr_queue_ptr 0
		.amdhsa_user_sgpr_kernarg_segment_ptr 1
		.amdhsa_user_sgpr_dispatch_id 0
		.amdhsa_user_sgpr_flat_scratch_init 0
		.amdhsa_user_sgpr_kernarg_preload_length 0
		.amdhsa_user_sgpr_kernarg_preload_offset 0
		.amdhsa_user_sgpr_private_segment_size 0
		.amdhsa_uses_dynamic_stack 0
		.amdhsa_system_sgpr_private_segment_wavefront_offset 0
		.amdhsa_system_sgpr_workgroup_id_x 1
		.amdhsa_system_sgpr_workgroup_id_y 1
		.amdhsa_system_sgpr_workgroup_id_z 0
		.amdhsa_system_sgpr_workgroup_info 0
		.amdhsa_system_vgpr_workitem_id 0
		.amdhsa_next_free_vgpr 40
		.amdhsa_next_free_sgpr 32
		.amdhsa_accum_offset 40
		.amdhsa_reserve_vcc 1
		.amdhsa_reserve_flat_scratch 0
		.amdhsa_float_round_mode_32 0
		.amdhsa_float_round_mode_16_64 0
		.amdhsa_float_denorm_mode_32 3
		.amdhsa_float_denorm_mode_16_64 3
		.amdhsa_dx10_clamp 1
		.amdhsa_ieee_mode 1
		.amdhsa_fp16_overflow 0
		.amdhsa_tg_split 0
		.amdhsa_exception_fp_ieee_invalid_op 0
		.amdhsa_exception_fp_denorm_src 0
		.amdhsa_exception_fp_ieee_div_zero 0
		.amdhsa_exception_fp_ieee_overflow 0
		.amdhsa_exception_fp_ieee_underflow 0
		.amdhsa_exception_fp_ieee_inexact 0
		.amdhsa_exception_int_div_zero 0
	.end_amdhsa_kernel
	.section	.text._ZN5aiter23fused_qk_rmsnorm_kernelIDF16_Li128ELi8ELb1ELi4EEEvPT_S2_PKS1_S4_S4_S4_ffiiiiiii,"axG",@progbits,_ZN5aiter23fused_qk_rmsnorm_kernelIDF16_Li128ELi8ELb1ELi4EEEvPT_S2_PKS1_S4_S4_S4_ffiiiiiii,comdat
.Lfunc_end5:
	.size	_ZN5aiter23fused_qk_rmsnorm_kernelIDF16_Li128ELi8ELb1ELi4EEEvPT_S2_PKS1_S4_S4_S4_ffiiiiiii, .Lfunc_end5-_ZN5aiter23fused_qk_rmsnorm_kernelIDF16_Li128ELi8ELb1ELi4EEEvPT_S2_PKS1_S4_S4_S4_ffiiiiiii
                                        ; -- End function
	.section	.AMDGPU.csdata,"",@progbits
; Kernel info:
; codeLenInByte = 1172
; NumSgprs: 36
; NumVgprs: 40
; NumAgprs: 0
; TotalNumVgprs: 40
; ScratchSize: 0
; MemoryBound: 0
; FloatMode: 240
; IeeeMode: 1
; LDSByteSize: 8 bytes/workgroup (compile time only)
; SGPRBlocks: 4
; VGPRBlocks: 4
; NumSGPRsForWavesPerEU: 36
; NumVGPRsForWavesPerEU: 40
; AccumOffset: 40
; Occupancy: 8
; WaveLimiterHint : 0
; COMPUTE_PGM_RSRC2:SCRATCH_EN: 0
; COMPUTE_PGM_RSRC2:USER_SGPR: 6
; COMPUTE_PGM_RSRC2:TRAP_HANDLER: 0
; COMPUTE_PGM_RSRC2:TGID_X_EN: 1
; COMPUTE_PGM_RSRC2:TGID_Y_EN: 1
; COMPUTE_PGM_RSRC2:TGID_Z_EN: 0
; COMPUTE_PGM_RSRC2:TIDIG_COMP_CNT: 0
; COMPUTE_PGM_RSRC3_GFX90A:ACCUM_OFFSET: 9
; COMPUTE_PGM_RSRC3_GFX90A:TG_SPLIT: 0
	.section	.text._ZN5aiter23fused_qk_rmsnorm_kernelItLi128ELi8ELb1ELi4EEEvPT_S2_PKS1_S4_S4_S4_ffiiiiiii,"axG",@progbits,_ZN5aiter23fused_qk_rmsnorm_kernelItLi128ELi8ELb1ELi4EEEvPT_S2_PKS1_S4_S4_S4_ffiiiiiii,comdat
	.protected	_ZN5aiter23fused_qk_rmsnorm_kernelItLi128ELi8ELb1ELi4EEEvPT_S2_PKS1_S4_S4_S4_ffiiiiiii ; -- Begin function _ZN5aiter23fused_qk_rmsnorm_kernelItLi128ELi8ELb1ELi4EEEvPT_S2_PKS1_S4_S4_S4_ffiiiiiii
	.globl	_ZN5aiter23fused_qk_rmsnorm_kernelItLi128ELi8ELb1ELi4EEEvPT_S2_PKS1_S4_S4_S4_ffiiiiiii
	.p2align	8
	.type	_ZN5aiter23fused_qk_rmsnorm_kernelItLi128ELi8ELb1ELi4EEEvPT_S2_PKS1_S4_S4_S4_ffiiiiiii,@function
_ZN5aiter23fused_qk_rmsnorm_kernelItLi128ELi8ELb1ELi4EEEvPT_S2_PKS1_S4_S4_S4_ffiiiiiii: ; @_ZN5aiter23fused_qk_rmsnorm_kernelItLi128ELi8ELb1ELi4EEEvPT_S2_PKS1_S4_S4_S4_ffiiiiiii
; %bb.0:
	s_load_dwordx8 s[8:15], s[4:5], 0x30
	s_mov_b32 s0, s7
	s_mov_b32 s7, 0
	s_lshl_b64 s[16:17], s[6:7], 2
	s_waitcnt lgkmcnt(0)
	s_ashr_i32 s19, s10, 31
	s_mov_b32 s18, s10
	v_pk_mov_b32 v[2:3], s[18:19], s[18:19] op_sel:[0,1]
	v_cmp_ge_i64_e32 vcc, s[16:17], v[2:3]
	s_cbranch_vccnz .LBB6_11
; %bb.1:
	s_load_dwordx8 s[20:27], s[4:5], 0x0
	s_load_dwordx4 s[28:31], s[4:5], 0x20
	s_load_dword s3, s[4:5], 0x50
	s_cmp_eq_u32 s0, 0
	s_cselect_b64 vcc, -1, 0
	s_and_b64 s[0:1], vcc, exec
	s_cselect_b32 s2, s13, s14
	v_mov_b32_e32 v2, s8
	s_cselect_b32 s5, s11, s12
	s_waitcnt lgkmcnt(0)
	s_cselect_b32 s25, s25, s27
	s_cselect_b32 s24, s24, s26
	;; [unrolled: 1-line block ×7, first 2 shown]
	s_ashr_i32 s3, s2, 31
	s_mul_i32 s0, s16, s3
	s_mul_hi_u32 s1, s16, s2
	s_add_i32 s0, s1, s0
	s_mul_i32 s1, s17, s2
	s_add_i32 s1, s0, s1
	s_mul_i32 s0, s16, s2
	s_lshl_b64 s[0:1], s[0:1], 1
	s_add_u32 s12, s24, s0
	s_addc_u32 s0, s25, s1
	s_add_i32 s1, s5, 1
	v_mov_b32_e32 v1, s9
	s_lshr_b32 s9, s1, 31
	s_add_i32 s1, s1, s9
	s_lshl_b32 s1, s1, 1
	s_and_b32 s10, s1, -4
	s_and_b32 s9, s7, 0xffff
	s_mov_b32 s11, 0x20000
	v_lshlrev_b32_e32 v27, 4, v0
	buffer_load_dwordx4 v[6:9], v27, s[8:11], 0 offen
	s_and_b32 s13, s0, 0xffff
	s_mov_b32 s14, s10
	s_mov_b32 s15, s11
	v_cndmask_b32_e32 v26, v1, v2, vcc
	buffer_load_dwordx4 v[2:5], v27, s[12:15], 0 offen glc slc
	v_cvt_f32_i32_e32 v30, s5
	s_ashr_i32 s5, s4, 31
	s_mul_hi_u32 s7, s4, s6
	s_mul_i32 s8, s4, s6
	s_mul_i32 s6, s5, s6
	s_add_i32 s9, s7, s6
	s_lshl_b64 s[6:7], s[8:9], 3
	s_add_u32 s14, s20, s6
	s_addc_u32 s15, s21, s7
	s_lshl_b64 s[4:5], s[4:5], 1
	s_add_u32 s6, s16, 1
	s_addc_u32 s7, s17, 0
	s_mul_hi_u32 s8, s6, s2
	s_mul_i32 s9, s6, s3
	v_and_b32_e32 v1, 63, v0
	v_lshrrev_b32_e32 v10, 4, v0
	v_and_b32_e32 v0, 1, v0
	s_add_i32 s8, s8, s9
	s_mul_i32 s7, s7, s2
	v_cmp_eq_u32_e64 s[0:1], 63, v1
	v_and_b32_e32 v28, 60, v10
	v_lshlrev_b32_e32 v29, 2, v0
	s_mul_i32 s6, s6, s2
	s_add_i32 s7, s8, s7
	s_lshl_b64 s[6:7], s[6:7], 1
	s_add_u32 s20, s24, s6
	s_addc_u32 s21, s25, s7
	s_lshl_b64 s[6:7], s[2:3], 1
	s_mov_b64 s[12:13], 0
	v_pk_mov_b32 v[16:17], s[18:19], s[18:19] op_sel:[0,1]
	s_mov_b32 s22, 0x800000
	s_mov_b32 s23, 0x7060302
	s_waitcnt vmcnt(1)
	v_cvt_f32_u32_sdwa v1, v6 dst_sel:DWORD dst_unused:UNUSED_PAD src0_sel:WORD_1
	v_cvt_f32_u32_sdwa v0, v6 dst_sel:DWORD dst_unused:UNUSED_PAD src0_sel:WORD_0
	v_cvt_f32_u32_sdwa v11, v7 dst_sel:DWORD dst_unused:UNUSED_PAD src0_sel:WORD_1
	v_cvt_f32_u32_sdwa v10, v7 dst_sel:DWORD dst_unused:UNUSED_PAD src0_sel:WORD_0
	;; [unrolled: 2-line block ×4, first 2 shown]
	s_branch .LBB6_3
.LBB6_2:                                ;   in Loop: Header=BB6_3 Depth=1
	s_cmp_eq_u32 s12, 3
	s_cselect_b64 s[8:9], -1, 0
	s_or_b64 s[2:3], s[2:3], s[8:9]
	s_add_u32 s12, s12, 1
	s_addc_u32 s13, s13, 0
	s_add_u32 s14, s14, s4
	s_addc_u32 s15, s15, s5
	s_add_u32 s20, s20, s6
	s_waitcnt vmcnt(0)
	v_pk_mov_b32 v[2:3], v[6:7], v[6:7] op_sel:[0,1]
	s_addc_u32 s21, s21, s7
	s_andn2_b64 vcc, exec, s[2:3]
	v_pk_mov_b32 v[4:5], v[8:9], v[8:9] op_sel:[0,1]
	s_cbranch_vccz .LBB6_11
.LBB6_3:                                ; =>This Inner Loop Header: Depth=1
	s_add_u32 s8, s16, s12
	s_addc_u32 s9, s17, s13
	v_cmp_lt_i64_e32 vcc, s[8:9], v[16:17]
	v_cmp_ge_i64_e64 s[2:3], s[8:9], v[16:17]
	s_cbranch_vccz .LBB6_9
; %bb.4:                                ;   in Loop: Header=BB6_3 Depth=1
	s_cmp_lg_u32 s12, 3
	s_cselect_b64 s[24:25], -1, 0
	s_add_u32 s8, s8, 1
	s_addc_u32 s9, s9, 0
	v_pk_mov_b32 v[6:7], s[18:19], s[18:19] op_sel:[0,1]
	v_cmp_lt_i64_e32 vcc, s[8:9], v[6:7]
	s_and_b64 s[8:9], s[24:25], vcc
	s_waitcnt vmcnt(0)
	v_pk_mov_b32 v[8:9], v[4:5], v[4:5] op_sel:[0,1]
	s_andn2_b64 vcc, exec, s[8:9]
	v_pk_mov_b32 v[6:7], v[2:3], v[2:3] op_sel:[0,1]
	s_cbranch_vccnz .LBB6_6
; %bb.5:                                ;   in Loop: Header=BB6_3 Depth=1
	s_and_b32 s9, s21, 0xffff
	s_mov_b32 s8, s20
	buffer_load_dwordx4 v[6:9], v27, s[8:11], 0 offen glc slc
.LBB6_6:                                ;   in Loop: Header=BB6_3 Depth=1
	v_and_b32_e32 v25, 0xffff0000, v2
	v_lshlrev_b32_e32 v24, 16, v2
	v_mul_f32_e32 v31, v25, v25
	v_lshlrev_b32_e32 v22, 16, v3
	v_fmac_f32_e32 v31, v24, v24
	v_and_b32_e32 v23, 0xffff0000, v3
	v_fmac_f32_e32 v31, v22, v22
	v_lshlrev_b32_e32 v20, 16, v4
	v_fmac_f32_e32 v31, v23, v23
	v_and_b32_e32 v21, 0xffff0000, v4
	v_fmac_f32_e32 v31, v20, v20
	v_lshlrev_b32_e32 v18, 16, v5
	v_fmac_f32_e32 v31, v21, v21
	v_and_b32_e32 v19, 0xffff0000, v5
	v_fmac_f32_e32 v31, v18, v18
	v_fmac_f32_e32 v31, v19, v19
	s_nop 1
	v_mov_b32_dpp v32, v31 quad_perm:[1,0,3,2] row_mask:0xf bank_mask:0xf
	v_add_f32_e32 v31, v31, v32
	s_nop 1
	v_mov_b32_dpp v32, v31 quad_perm:[2,3,0,1] row_mask:0xf bank_mask:0xf
	v_add_f32_e32 v31, v31, v32
	s_nop 1
	v_mov_b32_dpp v32, v31 row_half_mirror row_mask:0xf bank_mask:0xf
	v_add_f32_e32 v31, v31, v32
	s_nop 1
	v_mov_b32_dpp v32, v31 row_mirror row_mask:0xf bank_mask:0xf
	v_add_f32_e32 v31, v31, v32
	s_nop 1
	v_mov_b32_dpp v32, v31 row_bcast:15 row_mask:0xf bank_mask:0xf
	v_add_f32_e32 v31, v31, v32
	s_nop 1
	v_mov_b32_dpp v32, v31 row_bcast:31 row_mask:0xf bank_mask:0xf
	s_and_saveexec_b64 s[8:9], s[0:1]
	s_cbranch_execz .LBB6_8
; %bb.7:                                ;   in Loop: Header=BB6_3 Depth=1
	v_add_f32_e32 v31, v31, v32
	ds_write_b32 v28, v31
.LBB6_8:                                ;   in Loop: Header=BB6_3 Depth=1
	s_or_b64 exec, exec, s[8:9]
	s_waitcnt lgkmcnt(0)
	s_barrier
	ds_read_b32 v31, v29
	s_waitcnt lgkmcnt(0)
	s_nop 0
	v_mov_b32_dpp v32, v31 quad_perm:[1,0,3,2] row_mask:0xf bank_mask:0xf
	v_add_f32_e32 v31, v31, v32
	v_div_scale_f32 v32, s[8:9], v30, v30, v31
	v_rcp_f32_e32 v33, v32
	v_div_scale_f32 v34, vcc, v31, v30, v31
	s_and_b32 s9, s15, 0xffff
	v_fma_f32 v35, -v32, v33, 1.0
	v_fmac_f32_e32 v33, v35, v33
	v_mul_f32_e32 v35, v34, v33
	v_fma_f32 v36, -v32, v35, v34
	v_fmac_f32_e32 v35, v36, v33
	v_fma_f32 v32, -v32, v35, v34
	v_div_fmas_f32 v32, v32, v33, v35
	v_div_fixup_f32 v31, v32, v30, v31
	v_add_f32_e32 v31, v26, v31
	v_mul_f32_e32 v32, 0x4b800000, v31
	v_cmp_gt_f32_e32 vcc, s22, v31
	v_cndmask_b32_e32 v31, v31, v32, vcc
	v_rsq_f32_e32 v31, v31
	s_mov_b32 s8, s14
	v_mul_f32_e32 v32, 0x45800000, v31
	v_cndmask_b32_e32 v32, v31, v32, vcc
	v_mov_b32_e32 v33, v32
	;;#ASMSTART
	v_pk_mul_f32 v[24:25], v[24:25], v[32:33]
	;;#ASMEND
	;;#ASMSTART
	v_pk_mul_f32 v[22:23], v[22:23], v[32:33]
	;;#ASMEND
	;; [unrolled: 3-line block ×8, first 2 shown]
	v_perm_b32 v18, v25, v24, s23
	v_perm_b32 v19, v23, v22, s23
	;; [unrolled: 1-line block ×4, first 2 shown]
	buffer_store_dwordx4 v[18:21], v27, s[8:11], 0 offen
	;;#ASMSTART
	s_nop 0
	;;#ASMEND
	s_branch .LBB6_2
.LBB6_9:                                ;   in Loop: Header=BB6_3 Depth=1
                                        ; implicit-def: $vgpr6_vgpr7_vgpr8_vgpr9
	s_cbranch_execz .LBB6_2
; %bb.10:                               ;   in Loop: Header=BB6_3 Depth=1
	s_waitcnt vmcnt(0)
	v_pk_mov_b32 v[8:9], v[4:5], v[4:5] op_sel:[0,1]
	v_pk_mov_b32 v[6:7], v[2:3], v[2:3] op_sel:[0,1]
	s_branch .LBB6_2
.LBB6_11:
	s_endpgm
	.section	.rodata,"a",@progbits
	.p2align	6, 0x0
	.amdhsa_kernel _ZN5aiter23fused_qk_rmsnorm_kernelItLi128ELi8ELb1ELi4EEEvPT_S2_PKS1_S4_S4_S4_ffiiiiiii
		.amdhsa_group_segment_fixed_size 8
		.amdhsa_private_segment_fixed_size 0
		.amdhsa_kernarg_size 84
		.amdhsa_user_sgpr_count 6
		.amdhsa_user_sgpr_private_segment_buffer 1
		.amdhsa_user_sgpr_dispatch_ptr 0
		.amdhsa_user_sgpr_queue_ptr 0
		.amdhsa_user_sgpr_kernarg_segment_ptr 1
		.amdhsa_user_sgpr_dispatch_id 0
		.amdhsa_user_sgpr_flat_scratch_init 0
		.amdhsa_user_sgpr_kernarg_preload_length 0
		.amdhsa_user_sgpr_kernarg_preload_offset 0
		.amdhsa_user_sgpr_private_segment_size 0
		.amdhsa_uses_dynamic_stack 0
		.amdhsa_system_sgpr_private_segment_wavefront_offset 0
		.amdhsa_system_sgpr_workgroup_id_x 1
		.amdhsa_system_sgpr_workgroup_id_y 1
		.amdhsa_system_sgpr_workgroup_id_z 0
		.amdhsa_system_sgpr_workgroup_info 0
		.amdhsa_system_vgpr_workitem_id 0
		.amdhsa_next_free_vgpr 37
		.amdhsa_next_free_sgpr 32
		.amdhsa_accum_offset 40
		.amdhsa_reserve_vcc 1
		.amdhsa_reserve_flat_scratch 0
		.amdhsa_float_round_mode_32 0
		.amdhsa_float_round_mode_16_64 0
		.amdhsa_float_denorm_mode_32 3
		.amdhsa_float_denorm_mode_16_64 3
		.amdhsa_dx10_clamp 1
		.amdhsa_ieee_mode 1
		.amdhsa_fp16_overflow 0
		.amdhsa_tg_split 0
		.amdhsa_exception_fp_ieee_invalid_op 0
		.amdhsa_exception_fp_denorm_src 0
		.amdhsa_exception_fp_ieee_div_zero 0
		.amdhsa_exception_fp_ieee_overflow 0
		.amdhsa_exception_fp_ieee_underflow 0
		.amdhsa_exception_fp_ieee_inexact 0
		.amdhsa_exception_int_div_zero 0
	.end_amdhsa_kernel
	.section	.text._ZN5aiter23fused_qk_rmsnorm_kernelItLi128ELi8ELb1ELi4EEEvPT_S2_PKS1_S4_S4_S4_ffiiiiiii,"axG",@progbits,_ZN5aiter23fused_qk_rmsnorm_kernelItLi128ELi8ELb1ELi4EEEvPT_S2_PKS1_S4_S4_S4_ffiiiiiii,comdat
.Lfunc_end6:
	.size	_ZN5aiter23fused_qk_rmsnorm_kernelItLi128ELi8ELb1ELi4EEEvPT_S2_PKS1_S4_S4_S4_ffiiiiiii, .Lfunc_end6-_ZN5aiter23fused_qk_rmsnorm_kernelItLi128ELi8ELb1ELi4EEEvPT_S2_PKS1_S4_S4_S4_ffiiiiiii
                                        ; -- End function
	.section	.AMDGPU.csdata,"",@progbits
; Kernel info:
; codeLenInByte = 1136
; NumSgprs: 36
; NumVgprs: 37
; NumAgprs: 0
; TotalNumVgprs: 37
; ScratchSize: 0
; MemoryBound: 0
; FloatMode: 240
; IeeeMode: 1
; LDSByteSize: 8 bytes/workgroup (compile time only)
; SGPRBlocks: 4
; VGPRBlocks: 4
; NumSGPRsForWavesPerEU: 36
; NumVGPRsForWavesPerEU: 37
; AccumOffset: 40
; Occupancy: 8
; WaveLimiterHint : 0
; COMPUTE_PGM_RSRC2:SCRATCH_EN: 0
; COMPUTE_PGM_RSRC2:USER_SGPR: 6
; COMPUTE_PGM_RSRC2:TRAP_HANDLER: 0
; COMPUTE_PGM_RSRC2:TGID_X_EN: 1
; COMPUTE_PGM_RSRC2:TGID_Y_EN: 1
; COMPUTE_PGM_RSRC2:TGID_Z_EN: 0
; COMPUTE_PGM_RSRC2:TIDIG_COMP_CNT: 0
; COMPUTE_PGM_RSRC3_GFX90A:ACCUM_OFFSET: 9
; COMPUTE_PGM_RSRC3_GFX90A:TG_SPLIT: 0
	.section	.text._ZN5aiter23fused_qk_rmsnorm_kernelIDF16_Li128ELi8ELb1ELi1EEEvPT_S2_PKS1_S4_S4_S4_ffiiiiiii,"axG",@progbits,_ZN5aiter23fused_qk_rmsnorm_kernelIDF16_Li128ELi8ELb1ELi1EEEvPT_S2_PKS1_S4_S4_S4_ffiiiiiii,comdat
	.protected	_ZN5aiter23fused_qk_rmsnorm_kernelIDF16_Li128ELi8ELb1ELi1EEEvPT_S2_PKS1_S4_S4_S4_ffiiiiiii ; -- Begin function _ZN5aiter23fused_qk_rmsnorm_kernelIDF16_Li128ELi8ELb1ELi1EEEvPT_S2_PKS1_S4_S4_S4_ffiiiiiii
	.globl	_ZN5aiter23fused_qk_rmsnorm_kernelIDF16_Li128ELi8ELb1ELi1EEEvPT_S2_PKS1_S4_S4_S4_ffiiiiiii
	.p2align	8
	.type	_ZN5aiter23fused_qk_rmsnorm_kernelIDF16_Li128ELi8ELb1ELi1EEEvPT_S2_PKS1_S4_S4_S4_ffiiiiiii,@function
_ZN5aiter23fused_qk_rmsnorm_kernelIDF16_Li128ELi8ELb1ELi1EEEvPT_S2_PKS1_S4_S4_S4_ffiiiiiii: ; @_ZN5aiter23fused_qk_rmsnorm_kernelIDF16_Li128ELi8ELb1ELi1EEEvPT_S2_PKS1_S4_S4_S4_ffiiiiiii
; %bb.0:
	s_load_dwordx8 s[8:15], s[4:5], 0x30
	s_mov_b32 s0, s7
	s_mov_b32 s7, 0
	s_waitcnt lgkmcnt(0)
	s_ashr_i32 s1, s10, 31
	v_mov_b32_e32 v2, s10
	v_mov_b32_e32 v3, s1
	v_cmp_ge_i64_e32 vcc, s[6:7], v[2:3]
	s_cbranch_vccnz .LBB7_4
; %bb.1:
	s_load_dwordx8 s[16:23], s[4:5], 0x0
	s_load_dwordx4 s[24:27], s[4:5], 0x20
	s_load_dword s7, s[4:5], 0x50
	s_cmp_eq_u32 s0, 0
	s_cselect_b64 vcc, -1, 0
	s_and_b64 s[0:1], vcc, exec
	s_cselect_b32 s2, s13, s14
	s_cselect_b32 s10, s11, s12
	s_waitcnt lgkmcnt(0)
	s_cselect_b32 s1, s21, s23
	s_cselect_b32 s4, s20, s22
	;; [unrolled: 1-line block ×4, first 2 shown]
	s_ashr_i32 s3, s2, 31
	s_mul_i32 s3, s3, s6
	s_mul_hi_u32 s11, s2, s6
	s_add_i32 s3, s11, s3
	s_mul_i32 s2, s2, s6
	s_lshl_b64 s[2:3], s[2:3], 1
	s_add_u32 s20, s4, s2
	s_addc_u32 s1, s1, s3
	s_add_i32 s2, s10, 1
	s_lshr_b32 s3, s2, 31
	s_add_i32 s2, s2, s3
	s_lshl_b32 s2, s2, 1
	s_and_b32 s2, s2, -4
	s_mov_b32 s3, 0x20000
	v_lshlrev_b32_e32 v1, 4, v0
	s_and_b32 s21, s1, 0xffff
	s_mov_b32 s22, s2
	s_mov_b32 s23, s3
	buffer_load_dwordx4 v[14:17], v1, s[20:23], 0 offen glc slc
	s_and_b32 s1, s5, 0xffff
	buffer_load_dwordx4 v[2:5], v1, s[0:3], 0 offen
	v_and_b32_e32 v22, 63, v0
	v_cmp_eq_u32_e64 s[0:1], 63, v22
	s_waitcnt vmcnt(1)
	v_cvt_f32_f16_e32 v12, v14
	v_cvt_f32_f16_sdwa v13, v14 dst_sel:DWORD dst_unused:UNUSED_PAD src0_sel:WORD_1
	v_cvt_f32_f16_e32 v10, v15
	v_cvt_f32_f16_sdwa v11, v15 dst_sel:DWORD dst_unused:UNUSED_PAD src0_sel:WORD_1
	;; [unrolled: 2-line block ×3, first 2 shown]
	v_pk_mul_f32 v[14:15], v[12:13], v[12:13]
	v_cvt_f32_f16_e32 v6, v17
	v_cvt_f32_f16_sdwa v7, v17 dst_sel:DWORD dst_unused:UNUSED_PAD src0_sel:WORD_1
	v_pk_mul_f32 v[16:17], v[10:11], v[10:11]
	v_add_f32_e32 v14, v14, v15
	v_add_f32_e32 v14, v14, v16
	v_pk_mul_f32 v[18:19], v[8:9], v[8:9]
	v_add_f32_e32 v14, v14, v17
	v_add_f32_e32 v14, v14, v18
	;; [unrolled: 3-line block ×3, first 2 shown]
	v_add_f32_e32 v14, v14, v21
	s_nop 1
	v_mov_b32_dpp v15, v14 quad_perm:[1,0,3,2] row_mask:0xf bank_mask:0xf
	v_add_f32_e32 v14, v14, v15
	s_nop 1
	v_mov_b32_dpp v15, v14 quad_perm:[2,3,0,1] row_mask:0xf bank_mask:0xf
	v_add_f32_e32 v14, v14, v15
	s_nop 1
	v_mov_b32_dpp v15, v14 row_half_mirror row_mask:0xf bank_mask:0xf
	v_add_f32_e32 v14, v14, v15
	s_nop 1
	v_mov_b32_dpp v15, v14 row_mirror row_mask:0xf bank_mask:0xf
	v_add_f32_e32 v14, v14, v15
	s_nop 1
	v_mov_b32_dpp v15, v14 row_bcast:15 row_mask:0xf bank_mask:0xf
	v_add_f32_e32 v14, v14, v15
	s_nop 1
	v_mov_b32_dpp v15, v14 row_bcast:31 row_mask:0xf bank_mask:0xf
	s_and_saveexec_b64 s[4:5], s[0:1]
	s_cbranch_execz .LBB7_3
; %bb.2:
	v_add_f32_e32 v14, v14, v15
	v_lshrrev_b32_e32 v15, 4, v0
	v_and_b32_e32 v15, 60, v15
	ds_write_b32 v15, v14
.LBB7_3:
	s_or_b64 exec, exec, s[4:5]
	v_and_b32_e32 v0, 1, v0
	v_lshlrev_b32_e32 v0, 2, v0
	s_waitcnt lgkmcnt(0)
	s_barrier
	ds_read_b32 v0, v0
	v_cvt_f32_i32_e32 v14, s10
	v_mov_b32_e32 v17, s9
	v_mov_b32_e32 v18, s8
	v_cndmask_b32_e32 v17, v17, v18, vcc
	s_waitcnt lgkmcnt(0)
	v_mov_b32_dpp v15, v0 quad_perm:[1,0,3,2] row_mask:0xf bank_mask:0xf
	v_add_f32_e32 v0, v0, v15
	v_div_scale_f32 v15, s[0:1], v14, v14, v0
	v_rcp_f32_e32 v16, v15
	s_and_b64 s[0:1], vcc, exec
	s_mov_b32 s0, 0x800000
	s_cselect_b32 s4, s17, s19
	v_fma_f32 v18, -v15, v16, 1.0
	v_fmac_f32_e32 v16, v18, v16
	v_div_scale_f32 v18, vcc, v0, v14, v0
	v_mul_f32_e32 v19, v18, v16
	v_fma_f32 v20, -v15, v19, v18
	v_fmac_f32_e32 v19, v20, v16
	v_fma_f32 v15, -v15, v19, v18
	v_div_fmas_f32 v15, v15, v16, v19
	v_div_fixup_f32 v0, v15, v14, v0
	v_add_f32_e32 v0, v17, v0
	v_mul_f32_e32 v14, 0x4b800000, v0
	v_cmp_gt_f32_e32 vcc, s0, v0
	v_cndmask_b32_e32 v0, v0, v14, vcc
	v_rsq_f32_e32 v0, v0
	s_cselect_b32 s0, s15, s7
	s_cselect_b32 s5, s16, s18
	s_waitcnt vmcnt(0)
	v_cvt_f32_f16_sdwa v17, v3 dst_sel:DWORD dst_unused:UNUSED_PAD src0_sel:WORD_1
	v_mul_f32_e32 v14, 0x45800000, v0
	v_cndmask_b32_e32 v14, v0, v14, vcc
	v_mov_b32_e32 v15, v14
	;;#ASMSTART
	v_pk_mul_f32 v[12:13], v[12:13], v[14:15]
	;;#ASMEND
	;;#ASMSTART
	v_pk_mul_f32 v[10:11], v[10:11], v[14:15]
	;;#ASMEND
	;; [unrolled: 3-line block ×4, first 2 shown]
	v_cvt_f32_f16_sdwa v15, v2 dst_sel:DWORD dst_unused:UNUSED_PAD src0_sel:WORD_1
	v_cvt_f32_f16_e32 v14, v2
	v_cvt_f32_f16_e32 v16, v3
	v_cvt_f32_f16_sdwa v3, v4 dst_sel:DWORD dst_unused:UNUSED_PAD src0_sel:WORD_1
	v_cvt_f32_f16_e32 v2, v4
	s_ashr_i32 s1, s0, 31
	v_cvt_f32_f16_sdwa v19, v5 dst_sel:DWORD dst_unused:UNUSED_PAD src0_sel:WORD_1
	v_cvt_f32_f16_e32 v18, v5
	;;#ASMSTART
	v_pk_mul_f32 v[4:5], v[12:13], v[14:15]
	;;#ASMEND
	;;#ASMSTART
	v_pk_mul_f32 v[10:11], v[10:11], v[16:17]
	;;#ASMEND
	;; [unrolled: 3-line block ×4, first 2 shown]
	s_mul_i32 s1, s1, s6
	s_mul_hi_u32 s7, s0, s6
	s_add_i32 s1, s7, s1
	s_mul_i32 s0, s0, s6
	v_cvt_f16_f32_e32 v0, v4
	v_cvt_f16_f32_e32 v4, v5
	;; [unrolled: 1-line block ×8, first 2 shown]
	s_lshl_b64 s[0:1], s[0:1], 1
	s_add_u32 s0, s5, s0
	s_addc_u32 s1, s4, s1
	s_and_b32 s1, s1, 0xffff
	v_pack_b32_f16 v2, v0, v4
	v_pack_b32_f16 v3, v5, v8
	;; [unrolled: 1-line block ×4, first 2 shown]
	buffer_store_dwordx4 v[2:5], v1, s[0:3], 0 offen
	;;#ASMSTART
	s_nop 0
	;;#ASMEND
.LBB7_4:
	s_endpgm
	.section	.rodata,"a",@progbits
	.p2align	6, 0x0
	.amdhsa_kernel _ZN5aiter23fused_qk_rmsnorm_kernelIDF16_Li128ELi8ELb1ELi1EEEvPT_S2_PKS1_S4_S4_S4_ffiiiiiii
		.amdhsa_group_segment_fixed_size 8
		.amdhsa_private_segment_fixed_size 0
		.amdhsa_kernarg_size 84
		.amdhsa_user_sgpr_count 6
		.amdhsa_user_sgpr_private_segment_buffer 1
		.amdhsa_user_sgpr_dispatch_ptr 0
		.amdhsa_user_sgpr_queue_ptr 0
		.amdhsa_user_sgpr_kernarg_segment_ptr 1
		.amdhsa_user_sgpr_dispatch_id 0
		.amdhsa_user_sgpr_flat_scratch_init 0
		.amdhsa_user_sgpr_kernarg_preload_length 0
		.amdhsa_user_sgpr_kernarg_preload_offset 0
		.amdhsa_user_sgpr_private_segment_size 0
		.amdhsa_uses_dynamic_stack 0
		.amdhsa_system_sgpr_private_segment_wavefront_offset 0
		.amdhsa_system_sgpr_workgroup_id_x 1
		.amdhsa_system_sgpr_workgroup_id_y 1
		.amdhsa_system_sgpr_workgroup_id_z 0
		.amdhsa_system_sgpr_workgroup_info 0
		.amdhsa_system_vgpr_workitem_id 0
		.amdhsa_next_free_vgpr 23
		.amdhsa_next_free_sgpr 28
		.amdhsa_accum_offset 24
		.amdhsa_reserve_vcc 1
		.amdhsa_reserve_flat_scratch 0
		.amdhsa_float_round_mode_32 0
		.amdhsa_float_round_mode_16_64 0
		.amdhsa_float_denorm_mode_32 3
		.amdhsa_float_denorm_mode_16_64 3
		.amdhsa_dx10_clamp 1
		.amdhsa_ieee_mode 1
		.amdhsa_fp16_overflow 0
		.amdhsa_tg_split 0
		.amdhsa_exception_fp_ieee_invalid_op 0
		.amdhsa_exception_fp_denorm_src 0
		.amdhsa_exception_fp_ieee_div_zero 0
		.amdhsa_exception_fp_ieee_overflow 0
		.amdhsa_exception_fp_ieee_underflow 0
		.amdhsa_exception_fp_ieee_inexact 0
		.amdhsa_exception_int_div_zero 0
	.end_amdhsa_kernel
	.section	.text._ZN5aiter23fused_qk_rmsnorm_kernelIDF16_Li128ELi8ELb1ELi1EEEvPT_S2_PKS1_S4_S4_S4_ffiiiiiii,"axG",@progbits,_ZN5aiter23fused_qk_rmsnorm_kernelIDF16_Li128ELi8ELb1ELi1EEEvPT_S2_PKS1_S4_S4_S4_ffiiiiiii,comdat
.Lfunc_end7:
	.size	_ZN5aiter23fused_qk_rmsnorm_kernelIDF16_Li128ELi8ELb1ELi1EEEvPT_S2_PKS1_S4_S4_S4_ffiiiiiii, .Lfunc_end7-_ZN5aiter23fused_qk_rmsnorm_kernelIDF16_Li128ELi8ELb1ELi1EEEvPT_S2_PKS1_S4_S4_S4_ffiiiiiii
                                        ; -- End function
	.section	.AMDGPU.csdata,"",@progbits
; Kernel info:
; codeLenInByte = 888
; NumSgprs: 32
; NumVgprs: 23
; NumAgprs: 0
; TotalNumVgprs: 23
; ScratchSize: 0
; MemoryBound: 0
; FloatMode: 240
; IeeeMode: 1
; LDSByteSize: 8 bytes/workgroup (compile time only)
; SGPRBlocks: 3
; VGPRBlocks: 2
; NumSGPRsForWavesPerEU: 32
; NumVGPRsForWavesPerEU: 23
; AccumOffset: 24
; Occupancy: 8
; WaveLimiterHint : 0
; COMPUTE_PGM_RSRC2:SCRATCH_EN: 0
; COMPUTE_PGM_RSRC2:USER_SGPR: 6
; COMPUTE_PGM_RSRC2:TRAP_HANDLER: 0
; COMPUTE_PGM_RSRC2:TGID_X_EN: 1
; COMPUTE_PGM_RSRC2:TGID_Y_EN: 1
; COMPUTE_PGM_RSRC2:TGID_Z_EN: 0
; COMPUTE_PGM_RSRC2:TIDIG_COMP_CNT: 0
; COMPUTE_PGM_RSRC3_GFX90A:ACCUM_OFFSET: 5
; COMPUTE_PGM_RSRC3_GFX90A:TG_SPLIT: 0
	.section	.text._ZN5aiter23fused_qk_rmsnorm_kernelItLi128ELi8ELb1ELi1EEEvPT_S2_PKS1_S4_S4_S4_ffiiiiiii,"axG",@progbits,_ZN5aiter23fused_qk_rmsnorm_kernelItLi128ELi8ELb1ELi1EEEvPT_S2_PKS1_S4_S4_S4_ffiiiiiii,comdat
	.protected	_ZN5aiter23fused_qk_rmsnorm_kernelItLi128ELi8ELb1ELi1EEEvPT_S2_PKS1_S4_S4_S4_ffiiiiiii ; -- Begin function _ZN5aiter23fused_qk_rmsnorm_kernelItLi128ELi8ELb1ELi1EEEvPT_S2_PKS1_S4_S4_S4_ffiiiiiii
	.globl	_ZN5aiter23fused_qk_rmsnorm_kernelItLi128ELi8ELb1ELi1EEEvPT_S2_PKS1_S4_S4_S4_ffiiiiiii
	.p2align	8
	.type	_ZN5aiter23fused_qk_rmsnorm_kernelItLi128ELi8ELb1ELi1EEEvPT_S2_PKS1_S4_S4_S4_ffiiiiiii,@function
_ZN5aiter23fused_qk_rmsnorm_kernelItLi128ELi8ELb1ELi1EEEvPT_S2_PKS1_S4_S4_S4_ffiiiiiii: ; @_ZN5aiter23fused_qk_rmsnorm_kernelItLi128ELi8ELb1ELi1EEEvPT_S2_PKS1_S4_S4_S4_ffiiiiiii
; %bb.0:
	s_load_dwordx8 s[8:15], s[4:5], 0x30
	s_mov_b32 s0, s7
	s_mov_b32 s7, 0
	s_waitcnt lgkmcnt(0)
	s_ashr_i32 s1, s10, 31
	v_mov_b32_e32 v2, s10
	v_mov_b32_e32 v3, s1
	v_cmp_ge_i64_e32 vcc, s[6:7], v[2:3]
	s_cbranch_vccnz .LBB8_4
; %bb.1:
	s_load_dwordx8 s[16:23], s[4:5], 0x0
	s_load_dwordx4 s[24:27], s[4:5], 0x20
	s_load_dword s7, s[4:5], 0x50
	s_cmp_eq_u32 s0, 0
	s_cselect_b64 vcc, -1, 0
	s_and_b64 s[0:1], vcc, exec
	s_cselect_b32 s2, s13, s14
	s_cselect_b32 s10, s11, s12
	s_waitcnt lgkmcnt(0)
	s_cselect_b32 s1, s21, s23
	s_cselect_b32 s4, s20, s22
	;; [unrolled: 1-line block ×4, first 2 shown]
	s_ashr_i32 s3, s2, 31
	s_mul_i32 s3, s3, s6
	s_mul_hi_u32 s11, s2, s6
	s_add_i32 s3, s11, s3
	s_mul_i32 s2, s2, s6
	s_lshl_b64 s[2:3], s[2:3], 1
	s_add_u32 s20, s4, s2
	s_addc_u32 s1, s1, s3
	s_add_i32 s2, s10, 1
	s_lshr_b32 s3, s2, 31
	s_add_i32 s2, s2, s3
	s_lshl_b32 s2, s2, 1
	s_and_b32 s2, s2, -4
	s_mov_b32 s3, 0x20000
	v_lshlrev_b32_e32 v1, 4, v0
	s_and_b32 s21, s1, 0xffff
	s_mov_b32 s22, s2
	s_mov_b32 s23, s3
	buffer_load_dwordx4 v[14:17], v1, s[20:23], 0 offen glc slc
	s_and_b32 s1, s5, 0xffff
	buffer_load_dwordx4 v[2:5], v1, s[0:3], 0 offen
	v_and_b32_e32 v22, 63, v0
	v_cmp_eq_u32_e64 s[0:1], 63, v22
	s_waitcnt vmcnt(1)
	v_and_b32_e32 v13, 0xffff0000, v14
	v_lshlrev_b32_e32 v12, 16, v14
	v_and_b32_e32 v11, 0xffff0000, v15
	v_lshlrev_b32_e32 v10, 16, v15
	v_pk_mul_f32 v[14:15], v[12:13], v[12:13]
	v_and_b32_e32 v9, 0xffff0000, v16
	v_lshlrev_b32_e32 v8, 16, v16
	v_and_b32_e32 v7, 0xffff0000, v17
	v_lshlrev_b32_e32 v6, 16, v17
	v_pk_mul_f32 v[16:17], v[10:11], v[10:11]
	v_add_f32_e32 v14, v14, v15
	v_add_f32_e32 v14, v14, v16
	v_pk_mul_f32 v[18:19], v[8:9], v[8:9]
	v_add_f32_e32 v14, v14, v17
	v_add_f32_e32 v14, v14, v18
	v_pk_mul_f32 v[20:21], v[6:7], v[6:7]
	v_add_f32_e32 v14, v14, v19
	v_add_f32_e32 v14, v14, v20
	v_add_f32_e32 v14, v14, v21
	s_nop 1
	v_mov_b32_dpp v15, v14 quad_perm:[1,0,3,2] row_mask:0xf bank_mask:0xf
	v_add_f32_e32 v14, v14, v15
	s_nop 1
	v_mov_b32_dpp v15, v14 quad_perm:[2,3,0,1] row_mask:0xf bank_mask:0xf
	v_add_f32_e32 v14, v14, v15
	s_nop 1
	v_mov_b32_dpp v15, v14 row_half_mirror row_mask:0xf bank_mask:0xf
	v_add_f32_e32 v14, v14, v15
	s_nop 1
	v_mov_b32_dpp v15, v14 row_mirror row_mask:0xf bank_mask:0xf
	v_add_f32_e32 v14, v14, v15
	s_nop 1
	v_mov_b32_dpp v15, v14 row_bcast:15 row_mask:0xf bank_mask:0xf
	v_add_f32_e32 v14, v14, v15
	s_nop 1
	v_mov_b32_dpp v15, v14 row_bcast:31 row_mask:0xf bank_mask:0xf
	s_and_saveexec_b64 s[4:5], s[0:1]
	s_cbranch_execz .LBB8_3
; %bb.2:
	v_add_f32_e32 v14, v14, v15
	v_lshrrev_b32_e32 v15, 4, v0
	v_and_b32_e32 v15, 60, v15
	ds_write_b32 v15, v14
.LBB8_3:
	s_or_b64 exec, exec, s[4:5]
	v_and_b32_e32 v0, 1, v0
	v_lshlrev_b32_e32 v0, 2, v0
	s_waitcnt lgkmcnt(0)
	s_barrier
	ds_read_b32 v0, v0
	v_cvt_f32_i32_e32 v14, s10
	v_mov_b32_e32 v17, s9
	v_mov_b32_e32 v18, s8
	v_cndmask_b32_e32 v17, v17, v18, vcc
	s_waitcnt lgkmcnt(0)
	v_mov_b32_dpp v15, v0 quad_perm:[1,0,3,2] row_mask:0xf bank_mask:0xf
	v_add_f32_e32 v0, v0, v15
	v_div_scale_f32 v15, s[0:1], v14, v14, v0
	v_rcp_f32_e32 v16, v15
	s_and_b64 s[0:1], vcc, exec
	s_mov_b32 s0, 0x800000
	s_cselect_b32 s4, s17, s19
	v_fma_f32 v18, -v15, v16, 1.0
	v_fmac_f32_e32 v16, v18, v16
	v_div_scale_f32 v18, vcc, v0, v14, v0
	v_mul_f32_e32 v19, v18, v16
	v_fma_f32 v20, -v15, v19, v18
	v_fmac_f32_e32 v19, v20, v16
	v_fma_f32 v15, -v15, v19, v18
	v_div_fmas_f32 v15, v15, v16, v19
	v_div_fixup_f32 v0, v15, v14, v0
	v_add_f32_e32 v0, v17, v0
	v_mul_f32_e32 v14, 0x4b800000, v0
	v_cmp_gt_f32_e32 vcc, s0, v0
	v_cndmask_b32_e32 v0, v0, v14, vcc
	v_rsq_f32_e32 v0, v0
	s_cselect_b32 s0, s15, s7
	s_cselect_b32 s5, s16, s18
	s_ashr_i32 s1, s0, 31
	s_mul_i32 s1, s1, s6
	s_mul_hi_u32 s7, s0, s6
	v_mul_f32_e32 v14, 0x45800000, v0
	s_add_i32 s1, s7, s1
	s_mul_i32 s0, s0, s6
	v_cndmask_b32_e32 v14, v0, v14, vcc
	s_lshl_b64 s[0:1], s[0:1], 1
	v_mov_b32_e32 v15, v14
	s_add_u32 s0, s5, s0
	;;#ASMSTART
	v_pk_mul_f32 v[12:13], v[12:13], v[14:15]
	;;#ASMEND
	;;#ASMSTART
	v_pk_mul_f32 v[10:11], v[10:11], v[14:15]
	;;#ASMEND
	;; [unrolled: 3-line block ×4, first 2 shown]
	s_waitcnt vmcnt(0)
	v_cvt_f32_u32_sdwa v15, v2 dst_sel:DWORD dst_unused:UNUSED_PAD src0_sel:WORD_1
	v_cvt_f32_u32_sdwa v14, v2 dst_sel:DWORD dst_unused:UNUSED_PAD src0_sel:WORD_0
	v_cvt_f32_u32_sdwa v17, v3 dst_sel:DWORD dst_unused:UNUSED_PAD src0_sel:WORD_1
	v_cvt_f32_u32_sdwa v16, v3 dst_sel:DWORD dst_unused:UNUSED_PAD src0_sel:WORD_0
	v_cvt_f32_u32_sdwa v3, v4 dst_sel:DWORD dst_unused:UNUSED_PAD src0_sel:WORD_1
	v_cvt_f32_u32_sdwa v2, v4 dst_sel:DWORD dst_unused:UNUSED_PAD src0_sel:WORD_0
	v_cvt_f32_u32_sdwa v19, v5 dst_sel:DWORD dst_unused:UNUSED_PAD src0_sel:WORD_1
	v_cvt_f32_u32_sdwa v18, v5 dst_sel:DWORD dst_unused:UNUSED_PAD src0_sel:WORD_0
	;;#ASMSTART
	v_pk_mul_f32 v[4:5], v[12:13], v[14:15]
	;;#ASMEND
	s_addc_u32 s1, s4, s1
	s_mov_b32 s4, 0x7060302
	;;#ASMSTART
	v_pk_mul_f32 v[10:11], v[10:11], v[16:17]
	;;#ASMEND
	;;#ASMSTART
	v_pk_mul_f32 v[8:9], v[8:9], v[2:3]
	;;#ASMEND
	;; [unrolled: 3-line block ×3, first 2 shown]
	s_and_b32 s1, s1, 0xffff
	v_perm_b32 v2, v5, v4, s4
	v_perm_b32 v3, v11, v10, s4
	;; [unrolled: 1-line block ×4, first 2 shown]
	buffer_store_dwordx4 v[2:5], v1, s[0:3], 0 offen
	;;#ASMSTART
	s_nop 0
	;;#ASMEND
.LBB8_4:
	s_endpgm
	.section	.rodata,"a",@progbits
	.p2align	6, 0x0
	.amdhsa_kernel _ZN5aiter23fused_qk_rmsnorm_kernelItLi128ELi8ELb1ELi1EEEvPT_S2_PKS1_S4_S4_S4_ffiiiiiii
		.amdhsa_group_segment_fixed_size 8
		.amdhsa_private_segment_fixed_size 0
		.amdhsa_kernarg_size 84
		.amdhsa_user_sgpr_count 6
		.amdhsa_user_sgpr_private_segment_buffer 1
		.amdhsa_user_sgpr_dispatch_ptr 0
		.amdhsa_user_sgpr_queue_ptr 0
		.amdhsa_user_sgpr_kernarg_segment_ptr 1
		.amdhsa_user_sgpr_dispatch_id 0
		.amdhsa_user_sgpr_flat_scratch_init 0
		.amdhsa_user_sgpr_kernarg_preload_length 0
		.amdhsa_user_sgpr_kernarg_preload_offset 0
		.amdhsa_user_sgpr_private_segment_size 0
		.amdhsa_uses_dynamic_stack 0
		.amdhsa_system_sgpr_private_segment_wavefront_offset 0
		.amdhsa_system_sgpr_workgroup_id_x 1
		.amdhsa_system_sgpr_workgroup_id_y 1
		.amdhsa_system_sgpr_workgroup_id_z 0
		.amdhsa_system_sgpr_workgroup_info 0
		.amdhsa_system_vgpr_workitem_id 0
		.amdhsa_next_free_vgpr 23
		.amdhsa_next_free_sgpr 28
		.amdhsa_accum_offset 24
		.amdhsa_reserve_vcc 1
		.amdhsa_reserve_flat_scratch 0
		.amdhsa_float_round_mode_32 0
		.amdhsa_float_round_mode_16_64 0
		.amdhsa_float_denorm_mode_32 3
		.amdhsa_float_denorm_mode_16_64 3
		.amdhsa_dx10_clamp 1
		.amdhsa_ieee_mode 1
		.amdhsa_fp16_overflow 0
		.amdhsa_tg_split 0
		.amdhsa_exception_fp_ieee_invalid_op 0
		.amdhsa_exception_fp_denorm_src 0
		.amdhsa_exception_fp_ieee_div_zero 0
		.amdhsa_exception_fp_ieee_overflow 0
		.amdhsa_exception_fp_ieee_underflow 0
		.amdhsa_exception_fp_ieee_inexact 0
		.amdhsa_exception_int_div_zero 0
	.end_amdhsa_kernel
	.section	.text._ZN5aiter23fused_qk_rmsnorm_kernelItLi128ELi8ELb1ELi1EEEvPT_S2_PKS1_S4_S4_S4_ffiiiiiii,"axG",@progbits,_ZN5aiter23fused_qk_rmsnorm_kernelItLi128ELi8ELb1ELi1EEEvPT_S2_PKS1_S4_S4_S4_ffiiiiiii,comdat
.Lfunc_end8:
	.size	_ZN5aiter23fused_qk_rmsnorm_kernelItLi128ELi8ELb1ELi1EEEvPT_S2_PKS1_S4_S4_S4_ffiiiiiii, .Lfunc_end8-_ZN5aiter23fused_qk_rmsnorm_kernelItLi128ELi8ELb1ELi1EEEvPT_S2_PKS1_S4_S4_S4_ffiiiiiii
                                        ; -- End function
	.section	.AMDGPU.csdata,"",@progbits
; Kernel info:
; codeLenInByte = 880
; NumSgprs: 32
; NumVgprs: 23
; NumAgprs: 0
; TotalNumVgprs: 23
; ScratchSize: 0
; MemoryBound: 0
; FloatMode: 240
; IeeeMode: 1
; LDSByteSize: 8 bytes/workgroup (compile time only)
; SGPRBlocks: 3
; VGPRBlocks: 2
; NumSGPRsForWavesPerEU: 32
; NumVGPRsForWavesPerEU: 23
; AccumOffset: 24
; Occupancy: 8
; WaveLimiterHint : 0
; COMPUTE_PGM_RSRC2:SCRATCH_EN: 0
; COMPUTE_PGM_RSRC2:USER_SGPR: 6
; COMPUTE_PGM_RSRC2:TRAP_HANDLER: 0
; COMPUTE_PGM_RSRC2:TGID_X_EN: 1
; COMPUTE_PGM_RSRC2:TGID_Y_EN: 1
; COMPUTE_PGM_RSRC2:TGID_Z_EN: 0
; COMPUTE_PGM_RSRC2:TIDIG_COMP_CNT: 0
; COMPUTE_PGM_RSRC3_GFX90A:ACCUM_OFFSET: 5
; COMPUTE_PGM_RSRC3_GFX90A:TG_SPLIT: 0
	.section	.text._ZN5aiter23fused_qk_rmsnorm_kernelIDF16_Li256ELi8ELb1ELi4EEEvPT_S2_PKS1_S4_S4_S4_ffiiiiiii,"axG",@progbits,_ZN5aiter23fused_qk_rmsnorm_kernelIDF16_Li256ELi8ELb1ELi4EEEvPT_S2_PKS1_S4_S4_S4_ffiiiiiii,comdat
	.protected	_ZN5aiter23fused_qk_rmsnorm_kernelIDF16_Li256ELi8ELb1ELi4EEEvPT_S2_PKS1_S4_S4_S4_ffiiiiiii ; -- Begin function _ZN5aiter23fused_qk_rmsnorm_kernelIDF16_Li256ELi8ELb1ELi4EEEvPT_S2_PKS1_S4_S4_S4_ffiiiiiii
	.globl	_ZN5aiter23fused_qk_rmsnorm_kernelIDF16_Li256ELi8ELb1ELi4EEEvPT_S2_PKS1_S4_S4_S4_ffiiiiiii
	.p2align	8
	.type	_ZN5aiter23fused_qk_rmsnorm_kernelIDF16_Li256ELi8ELb1ELi4EEEvPT_S2_PKS1_S4_S4_S4_ffiiiiiii,@function
_ZN5aiter23fused_qk_rmsnorm_kernelIDF16_Li256ELi8ELb1ELi4EEEvPT_S2_PKS1_S4_S4_S4_ffiiiiiii: ; @_ZN5aiter23fused_qk_rmsnorm_kernelIDF16_Li256ELi8ELb1ELi4EEEvPT_S2_PKS1_S4_S4_S4_ffiiiiiii
; %bb.0:
	s_load_dwordx8 s[8:15], s[4:5], 0x30
	s_mov_b32 s0, s7
	s_mov_b32 s7, 0
	s_lshl_b64 s[16:17], s[6:7], 2
	s_waitcnt lgkmcnt(0)
	s_ashr_i32 s19, s10, 31
	s_mov_b32 s18, s10
	v_pk_mov_b32 v[2:3], s[18:19], s[18:19] op_sel:[0,1]
	v_cmp_ge_i64_e32 vcc, s[16:17], v[2:3]
	s_cbranch_vccnz .LBB9_11
; %bb.1:
	s_load_dwordx8 s[20:27], s[4:5], 0x0
	s_load_dwordx4 s[28:31], s[4:5], 0x20
	s_load_dword s3, s[4:5], 0x50
	s_cmp_eq_u32 s0, 0
	s_cselect_b64 vcc, -1, 0
	s_and_b64 s[0:1], vcc, exec
	s_cselect_b32 s2, s13, s14
	v_mov_b32_e32 v2, s8
	s_cselect_b32 s5, s11, s12
	s_waitcnt lgkmcnt(0)
	s_cselect_b32 s25, s25, s27
	s_cselect_b32 s24, s24, s26
	;; [unrolled: 1-line block ×7, first 2 shown]
	s_ashr_i32 s3, s2, 31
	s_mul_i32 s0, s16, s3
	s_mul_hi_u32 s1, s16, s2
	s_add_i32 s0, s1, s0
	s_mul_i32 s1, s17, s2
	s_add_i32 s1, s0, s1
	s_mul_i32 s0, s16, s2
	s_lshl_b64 s[0:1], s[0:1], 1
	s_add_u32 s12, s24, s0
	s_addc_u32 s0, s25, s1
	s_add_i32 s1, s5, 1
	v_mov_b32_e32 v1, s9
	s_lshr_b32 s9, s1, 31
	s_add_i32 s1, s1, s9
	s_lshl_b32 s1, s1, 1
	s_and_b32 s10, s1, -4
	s_and_b32 s9, s7, 0xffff
	s_mov_b32 s11, 0x20000
	v_lshlrev_b32_e32 v27, 4, v0
	buffer_load_dwordx4 v[6:9], v27, s[8:11], 0 offen
	s_and_b32 s13, s0, 0xffff
	s_mov_b32 s14, s10
	s_mov_b32 s15, s11
	v_cndmask_b32_e32 v26, v1, v2, vcc
	buffer_load_dwordx4 v[2:5], v27, s[12:15], 0 offen glc slc
	v_cvt_f32_i32_e32 v30, s5
	s_ashr_i32 s5, s4, 31
	s_mul_hi_u32 s7, s4, s6
	s_mul_i32 s8, s4, s6
	s_mul_i32 s6, s5, s6
	s_add_i32 s9, s7, s6
	s_lshl_b64 s[6:7], s[8:9], 3
	s_add_u32 s14, s20, s6
	s_addc_u32 s15, s21, s7
	s_lshl_b64 s[4:5], s[4:5], 1
	s_add_u32 s6, s16, 1
	s_addc_u32 s7, s17, 0
	s_mul_hi_u32 s8, s6, s2
	s_mul_i32 s9, s6, s3
	v_and_b32_e32 v1, 63, v0
	v_lshrrev_b32_e32 v10, 4, v0
	v_and_b32_e32 v0, 3, v0
	s_add_i32 s8, s8, s9
	s_mul_i32 s7, s7, s2
	v_cmp_eq_u32_e64 s[0:1], 63, v1
	v_and_b32_e32 v28, 60, v10
	v_lshlrev_b32_e32 v29, 2, v0
	s_mul_i32 s6, s6, s2
	s_add_i32 s7, s8, s7
	s_lshl_b64 s[6:7], s[6:7], 1
	s_add_u32 s20, s24, s6
	s_addc_u32 s21, s25, s7
	s_lshl_b64 s[6:7], s[2:3], 1
	s_mov_b64 s[12:13], 0
	v_pk_mov_b32 v[16:17], s[18:19], s[18:19] op_sel:[0,1]
	s_mov_b32 s22, 0x800000
	s_waitcnt vmcnt(1)
	v_cvt_f32_f16_e32 v0, v6
	v_cvt_f32_f16_sdwa v1, v6 dst_sel:DWORD dst_unused:UNUSED_PAD src0_sel:WORD_1
	v_cvt_f32_f16_e32 v10, v7
	v_cvt_f32_f16_sdwa v11, v7 dst_sel:DWORD dst_unused:UNUSED_PAD src0_sel:WORD_1
	;; [unrolled: 2-line block ×4, first 2 shown]
	s_branch .LBB9_3
.LBB9_2:                                ;   in Loop: Header=BB9_3 Depth=1
	s_cmp_eq_u32 s12, 3
	s_cselect_b64 s[8:9], -1, 0
	s_or_b64 s[2:3], s[2:3], s[8:9]
	s_add_u32 s12, s12, 1
	s_addc_u32 s13, s13, 0
	s_add_u32 s14, s14, s4
	s_addc_u32 s15, s15, s5
	s_add_u32 s20, s20, s6
	s_waitcnt vmcnt(0)
	v_pk_mov_b32 v[2:3], v[6:7], v[6:7] op_sel:[0,1]
	s_addc_u32 s21, s21, s7
	s_andn2_b64 vcc, exec, s[2:3]
	v_pk_mov_b32 v[4:5], v[8:9], v[8:9] op_sel:[0,1]
	s_cbranch_vccz .LBB9_11
.LBB9_3:                                ; =>This Inner Loop Header: Depth=1
	s_add_u32 s8, s16, s12
	s_addc_u32 s9, s17, s13
	v_cmp_lt_i64_e32 vcc, s[8:9], v[16:17]
	v_cmp_ge_i64_e64 s[2:3], s[8:9], v[16:17]
	s_cbranch_vccz .LBB9_9
; %bb.4:                                ;   in Loop: Header=BB9_3 Depth=1
	s_cmp_lg_u32 s12, 3
	s_cselect_b64 s[24:25], -1, 0
	s_add_u32 s8, s8, 1
	s_addc_u32 s9, s9, 0
	v_pk_mov_b32 v[6:7], s[18:19], s[18:19] op_sel:[0,1]
	v_cmp_lt_i64_e32 vcc, s[8:9], v[6:7]
	s_and_b64 s[8:9], s[24:25], vcc
	s_waitcnt vmcnt(0)
	v_pk_mov_b32 v[8:9], v[4:5], v[4:5] op_sel:[0,1]
	s_andn2_b64 vcc, exec, s[8:9]
	v_pk_mov_b32 v[6:7], v[2:3], v[2:3] op_sel:[0,1]
	s_cbranch_vccnz .LBB9_6
; %bb.5:                                ;   in Loop: Header=BB9_3 Depth=1
	s_and_b32 s9, s21, 0xffff
	s_mov_b32 s8, s20
	buffer_load_dwordx4 v[6:9], v27, s[8:11], 0 offen glc slc
.LBB9_6:                                ;   in Loop: Header=BB9_3 Depth=1
	v_cvt_f32_f16_sdwa v19, v2 dst_sel:DWORD dst_unused:UNUSED_PAD src0_sel:WORD_1
	v_cvt_f32_f16_e32 v18, v2
	v_cvt_f32_f16_sdwa v21, v3 dst_sel:DWORD dst_unused:UNUSED_PAD src0_sel:WORD_1
	v_cvt_f32_f16_e32 v20, v3
	;; [unrolled: 2-line block ×3, first 2 shown]
	v_pk_mul_f32 v[32:33], v[18:19], v[18:19]
	v_cvt_f32_f16_sdwa v25, v5 dst_sel:DWORD dst_unused:UNUSED_PAD src0_sel:WORD_1
	v_cvt_f32_f16_e32 v24, v5
	v_pk_mul_f32 v[34:35], v[20:21], v[20:21]
	v_add_f32_e32 v31, v32, v33
	v_add_f32_e32 v31, v31, v34
	v_pk_mul_f32 v[36:37], v[22:23], v[22:23]
	v_add_f32_e32 v31, v31, v35
	v_add_f32_e32 v31, v31, v36
	;; [unrolled: 3-line block ×3, first 2 shown]
	v_add_f32_e32 v31, v31, v39
	s_nop 1
	v_mov_b32_dpp v32, v31 quad_perm:[1,0,3,2] row_mask:0xf bank_mask:0xf
	v_add_f32_e32 v31, v31, v32
	s_nop 1
	v_mov_b32_dpp v32, v31 quad_perm:[2,3,0,1] row_mask:0xf bank_mask:0xf
	v_add_f32_e32 v31, v31, v32
	s_nop 1
	v_mov_b32_dpp v32, v31 row_half_mirror row_mask:0xf bank_mask:0xf
	v_add_f32_e32 v31, v31, v32
	s_nop 1
	v_mov_b32_dpp v32, v31 row_mirror row_mask:0xf bank_mask:0xf
	v_add_f32_e32 v31, v31, v32
	s_nop 1
	v_mov_b32_dpp v32, v31 row_bcast:15 row_mask:0xf bank_mask:0xf
	v_add_f32_e32 v31, v31, v32
	s_nop 1
	v_mov_b32_dpp v32, v31 row_bcast:31 row_mask:0xf bank_mask:0xf
	s_and_saveexec_b64 s[8:9], s[0:1]
	s_cbranch_execz .LBB9_8
; %bb.7:                                ;   in Loop: Header=BB9_3 Depth=1
	v_add_f32_e32 v31, v31, v32
	ds_write_b32 v28, v31
.LBB9_8:                                ;   in Loop: Header=BB9_3 Depth=1
	s_or_b64 exec, exec, s[8:9]
	s_waitcnt lgkmcnt(0)
	s_barrier
	ds_read_b32 v31, v29
	s_waitcnt lgkmcnt(0)
	s_nop 0
	v_mov_b32_dpp v32, v31 quad_perm:[1,0,3,2] row_mask:0xf bank_mask:0xf
	v_add_f32_e32 v31, v31, v32
	s_nop 1
	v_mov_b32_dpp v32, v31 quad_perm:[2,3,0,1] row_mask:0xf bank_mask:0xf
	v_add_f32_e32 v31, v31, v32
	v_div_scale_f32 v32, s[8:9], v30, v30, v31
	v_rcp_f32_e32 v33, v32
	v_div_scale_f32 v34, vcc, v31, v30, v31
	s_and_b32 s9, s15, 0xffff
	v_fma_f32 v35, -v32, v33, 1.0
	v_fmac_f32_e32 v33, v35, v33
	v_mul_f32_e32 v35, v34, v33
	v_fma_f32 v36, -v32, v35, v34
	v_fmac_f32_e32 v35, v36, v33
	v_fma_f32 v32, -v32, v35, v34
	v_div_fmas_f32 v32, v32, v33, v35
	v_div_fixup_f32 v31, v32, v30, v31
	v_add_f32_e32 v31, v26, v31
	v_mul_f32_e32 v32, 0x4b800000, v31
	v_cmp_gt_f32_e32 vcc, s22, v31
	v_cndmask_b32_e32 v31, v31, v32, vcc
	v_rsq_f32_e32 v31, v31
	s_mov_b32 s8, s14
	v_mul_f32_e32 v32, 0x45800000, v31
	v_cndmask_b32_e32 v32, v31, v32, vcc
	v_mov_b32_e32 v33, v32
	;;#ASMSTART
	v_pk_mul_f32 v[18:19], v[18:19], v[32:33]
	;;#ASMEND
	;;#ASMSTART
	v_pk_mul_f32 v[20:21], v[20:21], v[32:33]
	;;#ASMEND
	;; [unrolled: 3-line block ×8, first 2 shown]
	v_cvt_f16_f32_e32 v18, v18
	v_cvt_f16_f32_e32 v19, v19
	v_cvt_f16_f32_e32 v20, v20
	v_cvt_f16_f32_e32 v21, v21
	v_cvt_f16_f32_e32 v22, v22
	v_cvt_f16_f32_e32 v23, v23
	v_cvt_f16_f32_e32 v24, v24
	v_cvt_f16_f32_e32 v25, v25
	v_pack_b32_f16 v18, v18, v19
	v_pack_b32_f16 v19, v20, v21
	;; [unrolled: 1-line block ×4, first 2 shown]
	buffer_store_dwordx4 v[18:21], v27, s[8:11], 0 offen
	;;#ASMSTART
	s_nop 0
	;;#ASMEND
	s_branch .LBB9_2
.LBB9_9:                                ;   in Loop: Header=BB9_3 Depth=1
                                        ; implicit-def: $vgpr6_vgpr7_vgpr8_vgpr9
	s_cbranch_execz .LBB9_2
; %bb.10:                               ;   in Loop: Header=BB9_3 Depth=1
	s_waitcnt vmcnt(0)
	v_pk_mov_b32 v[8:9], v[4:5], v[4:5] op_sel:[0,1]
	v_pk_mov_b32 v[6:7], v[2:3], v[2:3] op_sel:[0,1]
	s_branch .LBB9_2
.LBB9_11:
	s_endpgm
	.section	.rodata,"a",@progbits
	.p2align	6, 0x0
	.amdhsa_kernel _ZN5aiter23fused_qk_rmsnorm_kernelIDF16_Li256ELi8ELb1ELi4EEEvPT_S2_PKS1_S4_S4_S4_ffiiiiiii
		.amdhsa_group_segment_fixed_size 16
		.amdhsa_private_segment_fixed_size 0
		.amdhsa_kernarg_size 84
		.amdhsa_user_sgpr_count 6
		.amdhsa_user_sgpr_private_segment_buffer 1
		.amdhsa_user_sgpr_dispatch_ptr 0
		.amdhsa_user_sgpr_queue_ptr 0
		.amdhsa_user_sgpr_kernarg_segment_ptr 1
		.amdhsa_user_sgpr_dispatch_id 0
		.amdhsa_user_sgpr_flat_scratch_init 0
		.amdhsa_user_sgpr_kernarg_preload_length 0
		.amdhsa_user_sgpr_kernarg_preload_offset 0
		.amdhsa_user_sgpr_private_segment_size 0
		.amdhsa_uses_dynamic_stack 0
		.amdhsa_system_sgpr_private_segment_wavefront_offset 0
		.amdhsa_system_sgpr_workgroup_id_x 1
		.amdhsa_system_sgpr_workgroup_id_y 1
		.amdhsa_system_sgpr_workgroup_id_z 0
		.amdhsa_system_sgpr_workgroup_info 0
		.amdhsa_system_vgpr_workitem_id 0
		.amdhsa_next_free_vgpr 40
		.amdhsa_next_free_sgpr 32
		.amdhsa_accum_offset 40
		.amdhsa_reserve_vcc 1
		.amdhsa_reserve_flat_scratch 0
		.amdhsa_float_round_mode_32 0
		.amdhsa_float_round_mode_16_64 0
		.amdhsa_float_denorm_mode_32 3
		.amdhsa_float_denorm_mode_16_64 3
		.amdhsa_dx10_clamp 1
		.amdhsa_ieee_mode 1
		.amdhsa_fp16_overflow 0
		.amdhsa_tg_split 0
		.amdhsa_exception_fp_ieee_invalid_op 0
		.amdhsa_exception_fp_denorm_src 0
		.amdhsa_exception_fp_ieee_div_zero 0
		.amdhsa_exception_fp_ieee_overflow 0
		.amdhsa_exception_fp_ieee_underflow 0
		.amdhsa_exception_fp_ieee_inexact 0
		.amdhsa_exception_int_div_zero 0
	.end_amdhsa_kernel
	.section	.text._ZN5aiter23fused_qk_rmsnorm_kernelIDF16_Li256ELi8ELb1ELi4EEEvPT_S2_PKS1_S4_S4_S4_ffiiiiiii,"axG",@progbits,_ZN5aiter23fused_qk_rmsnorm_kernelIDF16_Li256ELi8ELb1ELi4EEEvPT_S2_PKS1_S4_S4_S4_ffiiiiiii,comdat
.Lfunc_end9:
	.size	_ZN5aiter23fused_qk_rmsnorm_kernelIDF16_Li256ELi8ELb1ELi4EEEvPT_S2_PKS1_S4_S4_S4_ffiiiiiii, .Lfunc_end9-_ZN5aiter23fused_qk_rmsnorm_kernelIDF16_Li256ELi8ELb1ELi4EEEvPT_S2_PKS1_S4_S4_S4_ffiiiiiii
                                        ; -- End function
	.section	.AMDGPU.csdata,"",@progbits
; Kernel info:
; codeLenInByte = 1188
; NumSgprs: 36
; NumVgprs: 40
; NumAgprs: 0
; TotalNumVgprs: 40
; ScratchSize: 0
; MemoryBound: 0
; FloatMode: 240
; IeeeMode: 1
; LDSByteSize: 16 bytes/workgroup (compile time only)
; SGPRBlocks: 4
; VGPRBlocks: 4
; NumSGPRsForWavesPerEU: 36
; NumVGPRsForWavesPerEU: 40
; AccumOffset: 40
; Occupancy: 8
; WaveLimiterHint : 0
; COMPUTE_PGM_RSRC2:SCRATCH_EN: 0
; COMPUTE_PGM_RSRC2:USER_SGPR: 6
; COMPUTE_PGM_RSRC2:TRAP_HANDLER: 0
; COMPUTE_PGM_RSRC2:TGID_X_EN: 1
; COMPUTE_PGM_RSRC2:TGID_Y_EN: 1
; COMPUTE_PGM_RSRC2:TGID_Z_EN: 0
; COMPUTE_PGM_RSRC2:TIDIG_COMP_CNT: 0
; COMPUTE_PGM_RSRC3_GFX90A:ACCUM_OFFSET: 9
; COMPUTE_PGM_RSRC3_GFX90A:TG_SPLIT: 0
	.section	.text._ZN5aiter23fused_qk_rmsnorm_kernelItLi256ELi8ELb1ELi4EEEvPT_S2_PKS1_S4_S4_S4_ffiiiiiii,"axG",@progbits,_ZN5aiter23fused_qk_rmsnorm_kernelItLi256ELi8ELb1ELi4EEEvPT_S2_PKS1_S4_S4_S4_ffiiiiiii,comdat
	.protected	_ZN5aiter23fused_qk_rmsnorm_kernelItLi256ELi8ELb1ELi4EEEvPT_S2_PKS1_S4_S4_S4_ffiiiiiii ; -- Begin function _ZN5aiter23fused_qk_rmsnorm_kernelItLi256ELi8ELb1ELi4EEEvPT_S2_PKS1_S4_S4_S4_ffiiiiiii
	.globl	_ZN5aiter23fused_qk_rmsnorm_kernelItLi256ELi8ELb1ELi4EEEvPT_S2_PKS1_S4_S4_S4_ffiiiiiii
	.p2align	8
	.type	_ZN5aiter23fused_qk_rmsnorm_kernelItLi256ELi8ELb1ELi4EEEvPT_S2_PKS1_S4_S4_S4_ffiiiiiii,@function
_ZN5aiter23fused_qk_rmsnorm_kernelItLi256ELi8ELb1ELi4EEEvPT_S2_PKS1_S4_S4_S4_ffiiiiiii: ; @_ZN5aiter23fused_qk_rmsnorm_kernelItLi256ELi8ELb1ELi4EEEvPT_S2_PKS1_S4_S4_S4_ffiiiiiii
; %bb.0:
	s_load_dwordx8 s[8:15], s[4:5], 0x30
	s_mov_b32 s0, s7
	s_mov_b32 s7, 0
	s_lshl_b64 s[16:17], s[6:7], 2
	s_waitcnt lgkmcnt(0)
	s_ashr_i32 s19, s10, 31
	s_mov_b32 s18, s10
	v_pk_mov_b32 v[2:3], s[18:19], s[18:19] op_sel:[0,1]
	v_cmp_ge_i64_e32 vcc, s[16:17], v[2:3]
	s_cbranch_vccnz .LBB10_11
; %bb.1:
	s_load_dwordx8 s[20:27], s[4:5], 0x0
	s_load_dwordx4 s[28:31], s[4:5], 0x20
	s_load_dword s3, s[4:5], 0x50
	s_cmp_eq_u32 s0, 0
	s_cselect_b64 vcc, -1, 0
	s_and_b64 s[0:1], vcc, exec
	s_cselect_b32 s2, s13, s14
	v_mov_b32_e32 v2, s8
	s_cselect_b32 s5, s11, s12
	s_waitcnt lgkmcnt(0)
	s_cselect_b32 s25, s25, s27
	s_cselect_b32 s24, s24, s26
	;; [unrolled: 1-line block ×7, first 2 shown]
	s_ashr_i32 s3, s2, 31
	s_mul_i32 s0, s16, s3
	s_mul_hi_u32 s1, s16, s2
	s_add_i32 s0, s1, s0
	s_mul_i32 s1, s17, s2
	s_add_i32 s1, s0, s1
	s_mul_i32 s0, s16, s2
	s_lshl_b64 s[0:1], s[0:1], 1
	s_add_u32 s12, s24, s0
	s_addc_u32 s0, s25, s1
	s_add_i32 s1, s5, 1
	v_mov_b32_e32 v1, s9
	s_lshr_b32 s9, s1, 31
	s_add_i32 s1, s1, s9
	s_lshl_b32 s1, s1, 1
	s_and_b32 s10, s1, -4
	s_and_b32 s9, s7, 0xffff
	s_mov_b32 s11, 0x20000
	v_lshlrev_b32_e32 v27, 4, v0
	buffer_load_dwordx4 v[6:9], v27, s[8:11], 0 offen
	s_and_b32 s13, s0, 0xffff
	s_mov_b32 s14, s10
	s_mov_b32 s15, s11
	v_cndmask_b32_e32 v26, v1, v2, vcc
	buffer_load_dwordx4 v[2:5], v27, s[12:15], 0 offen glc slc
	v_cvt_f32_i32_e32 v30, s5
	s_ashr_i32 s5, s4, 31
	s_mul_hi_u32 s7, s4, s6
	s_mul_i32 s8, s4, s6
	s_mul_i32 s6, s5, s6
	s_add_i32 s9, s7, s6
	s_lshl_b64 s[6:7], s[8:9], 3
	s_add_u32 s14, s20, s6
	s_addc_u32 s15, s21, s7
	s_lshl_b64 s[4:5], s[4:5], 1
	s_add_u32 s6, s16, 1
	s_addc_u32 s7, s17, 0
	s_mul_hi_u32 s8, s6, s2
	s_mul_i32 s9, s6, s3
	v_and_b32_e32 v1, 63, v0
	v_lshrrev_b32_e32 v10, 4, v0
	v_and_b32_e32 v0, 3, v0
	s_add_i32 s8, s8, s9
	s_mul_i32 s7, s7, s2
	v_cmp_eq_u32_e64 s[0:1], 63, v1
	v_and_b32_e32 v28, 60, v10
	v_lshlrev_b32_e32 v29, 2, v0
	s_mul_i32 s6, s6, s2
	s_add_i32 s7, s8, s7
	s_lshl_b64 s[6:7], s[6:7], 1
	s_add_u32 s20, s24, s6
	s_addc_u32 s21, s25, s7
	s_lshl_b64 s[6:7], s[2:3], 1
	s_mov_b64 s[12:13], 0
	v_pk_mov_b32 v[16:17], s[18:19], s[18:19] op_sel:[0,1]
	s_mov_b32 s22, 0x800000
	s_mov_b32 s23, 0x7060302
	s_waitcnt vmcnt(1)
	v_cvt_f32_u32_sdwa v1, v6 dst_sel:DWORD dst_unused:UNUSED_PAD src0_sel:WORD_1
	v_cvt_f32_u32_sdwa v0, v6 dst_sel:DWORD dst_unused:UNUSED_PAD src0_sel:WORD_0
	v_cvt_f32_u32_sdwa v11, v7 dst_sel:DWORD dst_unused:UNUSED_PAD src0_sel:WORD_1
	v_cvt_f32_u32_sdwa v10, v7 dst_sel:DWORD dst_unused:UNUSED_PAD src0_sel:WORD_0
	;; [unrolled: 2-line block ×4, first 2 shown]
	s_branch .LBB10_3
.LBB10_2:                               ;   in Loop: Header=BB10_3 Depth=1
	s_cmp_eq_u32 s12, 3
	s_cselect_b64 s[8:9], -1, 0
	s_or_b64 s[2:3], s[2:3], s[8:9]
	s_add_u32 s12, s12, 1
	s_addc_u32 s13, s13, 0
	s_add_u32 s14, s14, s4
	s_addc_u32 s15, s15, s5
	s_add_u32 s20, s20, s6
	s_waitcnt vmcnt(0)
	v_pk_mov_b32 v[2:3], v[6:7], v[6:7] op_sel:[0,1]
	s_addc_u32 s21, s21, s7
	s_andn2_b64 vcc, exec, s[2:3]
	v_pk_mov_b32 v[4:5], v[8:9], v[8:9] op_sel:[0,1]
	s_cbranch_vccz .LBB10_11
.LBB10_3:                               ; =>This Inner Loop Header: Depth=1
	s_add_u32 s8, s16, s12
	s_addc_u32 s9, s17, s13
	v_cmp_lt_i64_e32 vcc, s[8:9], v[16:17]
	v_cmp_ge_i64_e64 s[2:3], s[8:9], v[16:17]
	s_cbranch_vccz .LBB10_9
; %bb.4:                                ;   in Loop: Header=BB10_3 Depth=1
	s_cmp_lg_u32 s12, 3
	s_cselect_b64 s[24:25], -1, 0
	s_add_u32 s8, s8, 1
	s_addc_u32 s9, s9, 0
	v_pk_mov_b32 v[6:7], s[18:19], s[18:19] op_sel:[0,1]
	v_cmp_lt_i64_e32 vcc, s[8:9], v[6:7]
	s_and_b64 s[8:9], s[24:25], vcc
	s_waitcnt vmcnt(0)
	v_pk_mov_b32 v[8:9], v[4:5], v[4:5] op_sel:[0,1]
	s_andn2_b64 vcc, exec, s[8:9]
	v_pk_mov_b32 v[6:7], v[2:3], v[2:3] op_sel:[0,1]
	s_cbranch_vccnz .LBB10_6
; %bb.5:                                ;   in Loop: Header=BB10_3 Depth=1
	s_and_b32 s9, s21, 0xffff
	s_mov_b32 s8, s20
	buffer_load_dwordx4 v[6:9], v27, s[8:11], 0 offen glc slc
.LBB10_6:                               ;   in Loop: Header=BB10_3 Depth=1
	v_and_b32_e32 v25, 0xffff0000, v2
	v_lshlrev_b32_e32 v24, 16, v2
	v_mul_f32_e32 v31, v25, v25
	v_lshlrev_b32_e32 v22, 16, v3
	v_fmac_f32_e32 v31, v24, v24
	v_and_b32_e32 v23, 0xffff0000, v3
	v_fmac_f32_e32 v31, v22, v22
	v_lshlrev_b32_e32 v20, 16, v4
	v_fmac_f32_e32 v31, v23, v23
	v_and_b32_e32 v21, 0xffff0000, v4
	v_fmac_f32_e32 v31, v20, v20
	;; [unrolled: 4-line block ×3, first 2 shown]
	v_fmac_f32_e32 v31, v19, v19
	s_nop 1
	v_mov_b32_dpp v32, v31 quad_perm:[1,0,3,2] row_mask:0xf bank_mask:0xf
	v_add_f32_e32 v31, v31, v32
	s_nop 1
	v_mov_b32_dpp v32, v31 quad_perm:[2,3,0,1] row_mask:0xf bank_mask:0xf
	v_add_f32_e32 v31, v31, v32
	s_nop 1
	v_mov_b32_dpp v32, v31 row_half_mirror row_mask:0xf bank_mask:0xf
	v_add_f32_e32 v31, v31, v32
	s_nop 1
	v_mov_b32_dpp v32, v31 row_mirror row_mask:0xf bank_mask:0xf
	v_add_f32_e32 v31, v31, v32
	s_nop 1
	v_mov_b32_dpp v32, v31 row_bcast:15 row_mask:0xf bank_mask:0xf
	v_add_f32_e32 v31, v31, v32
	s_nop 1
	v_mov_b32_dpp v32, v31 row_bcast:31 row_mask:0xf bank_mask:0xf
	s_and_saveexec_b64 s[8:9], s[0:1]
	s_cbranch_execz .LBB10_8
; %bb.7:                                ;   in Loop: Header=BB10_3 Depth=1
	v_add_f32_e32 v31, v31, v32
	ds_write_b32 v28, v31
.LBB10_8:                               ;   in Loop: Header=BB10_3 Depth=1
	s_or_b64 exec, exec, s[8:9]
	s_waitcnt lgkmcnt(0)
	s_barrier
	ds_read_b32 v31, v29
	s_waitcnt lgkmcnt(0)
	s_nop 0
	v_mov_b32_dpp v32, v31 quad_perm:[1,0,3,2] row_mask:0xf bank_mask:0xf
	v_add_f32_e32 v31, v31, v32
	s_nop 1
	v_mov_b32_dpp v32, v31 quad_perm:[2,3,0,1] row_mask:0xf bank_mask:0xf
	v_add_f32_e32 v31, v31, v32
	v_div_scale_f32 v32, s[8:9], v30, v30, v31
	v_rcp_f32_e32 v33, v32
	v_div_scale_f32 v34, vcc, v31, v30, v31
	s_and_b32 s9, s15, 0xffff
	v_fma_f32 v35, -v32, v33, 1.0
	v_fmac_f32_e32 v33, v35, v33
	v_mul_f32_e32 v35, v34, v33
	v_fma_f32 v36, -v32, v35, v34
	v_fmac_f32_e32 v35, v36, v33
	v_fma_f32 v32, -v32, v35, v34
	v_div_fmas_f32 v32, v32, v33, v35
	v_div_fixup_f32 v31, v32, v30, v31
	v_add_f32_e32 v31, v26, v31
	v_mul_f32_e32 v32, 0x4b800000, v31
	v_cmp_gt_f32_e32 vcc, s22, v31
	v_cndmask_b32_e32 v31, v31, v32, vcc
	v_rsq_f32_e32 v31, v31
	s_mov_b32 s8, s14
	v_mul_f32_e32 v32, 0x45800000, v31
	v_cndmask_b32_e32 v32, v31, v32, vcc
	v_mov_b32_e32 v33, v32
	;;#ASMSTART
	v_pk_mul_f32 v[24:25], v[24:25], v[32:33]
	;;#ASMEND
	;;#ASMSTART
	v_pk_mul_f32 v[22:23], v[22:23], v[32:33]
	;;#ASMEND
	;; [unrolled: 3-line block ×8, first 2 shown]
	v_perm_b32 v18, v25, v24, s23
	v_perm_b32 v19, v23, v22, s23
	;; [unrolled: 1-line block ×4, first 2 shown]
	buffer_store_dwordx4 v[18:21], v27, s[8:11], 0 offen
	;;#ASMSTART
	s_nop 0
	;;#ASMEND
	s_branch .LBB10_2
.LBB10_9:                               ;   in Loop: Header=BB10_3 Depth=1
                                        ; implicit-def: $vgpr6_vgpr7_vgpr8_vgpr9
	s_cbranch_execz .LBB10_2
; %bb.10:                               ;   in Loop: Header=BB10_3 Depth=1
	s_waitcnt vmcnt(0)
	v_pk_mov_b32 v[8:9], v[4:5], v[4:5] op_sel:[0,1]
	v_pk_mov_b32 v[6:7], v[2:3], v[2:3] op_sel:[0,1]
	s_branch .LBB10_2
.LBB10_11:
	s_endpgm
	.section	.rodata,"a",@progbits
	.p2align	6, 0x0
	.amdhsa_kernel _ZN5aiter23fused_qk_rmsnorm_kernelItLi256ELi8ELb1ELi4EEEvPT_S2_PKS1_S4_S4_S4_ffiiiiiii
		.amdhsa_group_segment_fixed_size 16
		.amdhsa_private_segment_fixed_size 0
		.amdhsa_kernarg_size 84
		.amdhsa_user_sgpr_count 6
		.amdhsa_user_sgpr_private_segment_buffer 1
		.amdhsa_user_sgpr_dispatch_ptr 0
		.amdhsa_user_sgpr_queue_ptr 0
		.amdhsa_user_sgpr_kernarg_segment_ptr 1
		.amdhsa_user_sgpr_dispatch_id 0
		.amdhsa_user_sgpr_flat_scratch_init 0
		.amdhsa_user_sgpr_kernarg_preload_length 0
		.amdhsa_user_sgpr_kernarg_preload_offset 0
		.amdhsa_user_sgpr_private_segment_size 0
		.amdhsa_uses_dynamic_stack 0
		.amdhsa_system_sgpr_private_segment_wavefront_offset 0
		.amdhsa_system_sgpr_workgroup_id_x 1
		.amdhsa_system_sgpr_workgroup_id_y 1
		.amdhsa_system_sgpr_workgroup_id_z 0
		.amdhsa_system_sgpr_workgroup_info 0
		.amdhsa_system_vgpr_workitem_id 0
		.amdhsa_next_free_vgpr 37
		.amdhsa_next_free_sgpr 32
		.amdhsa_accum_offset 40
		.amdhsa_reserve_vcc 1
		.amdhsa_reserve_flat_scratch 0
		.amdhsa_float_round_mode_32 0
		.amdhsa_float_round_mode_16_64 0
		.amdhsa_float_denorm_mode_32 3
		.amdhsa_float_denorm_mode_16_64 3
		.amdhsa_dx10_clamp 1
		.amdhsa_ieee_mode 1
		.amdhsa_fp16_overflow 0
		.amdhsa_tg_split 0
		.amdhsa_exception_fp_ieee_invalid_op 0
		.amdhsa_exception_fp_denorm_src 0
		.amdhsa_exception_fp_ieee_div_zero 0
		.amdhsa_exception_fp_ieee_overflow 0
		.amdhsa_exception_fp_ieee_underflow 0
		.amdhsa_exception_fp_ieee_inexact 0
		.amdhsa_exception_int_div_zero 0
	.end_amdhsa_kernel
	.section	.text._ZN5aiter23fused_qk_rmsnorm_kernelItLi256ELi8ELb1ELi4EEEvPT_S2_PKS1_S4_S4_S4_ffiiiiiii,"axG",@progbits,_ZN5aiter23fused_qk_rmsnorm_kernelItLi256ELi8ELb1ELi4EEEvPT_S2_PKS1_S4_S4_S4_ffiiiiiii,comdat
.Lfunc_end10:
	.size	_ZN5aiter23fused_qk_rmsnorm_kernelItLi256ELi8ELb1ELi4EEEvPT_S2_PKS1_S4_S4_S4_ffiiiiiii, .Lfunc_end10-_ZN5aiter23fused_qk_rmsnorm_kernelItLi256ELi8ELb1ELi4EEEvPT_S2_PKS1_S4_S4_S4_ffiiiiiii
                                        ; -- End function
	.section	.AMDGPU.csdata,"",@progbits
; Kernel info:
; codeLenInByte = 1152
; NumSgprs: 36
; NumVgprs: 37
; NumAgprs: 0
; TotalNumVgprs: 37
; ScratchSize: 0
; MemoryBound: 0
; FloatMode: 240
; IeeeMode: 1
; LDSByteSize: 16 bytes/workgroup (compile time only)
; SGPRBlocks: 4
; VGPRBlocks: 4
; NumSGPRsForWavesPerEU: 36
; NumVGPRsForWavesPerEU: 37
; AccumOffset: 40
; Occupancy: 8
; WaveLimiterHint : 0
; COMPUTE_PGM_RSRC2:SCRATCH_EN: 0
; COMPUTE_PGM_RSRC2:USER_SGPR: 6
; COMPUTE_PGM_RSRC2:TRAP_HANDLER: 0
; COMPUTE_PGM_RSRC2:TGID_X_EN: 1
; COMPUTE_PGM_RSRC2:TGID_Y_EN: 1
; COMPUTE_PGM_RSRC2:TGID_Z_EN: 0
; COMPUTE_PGM_RSRC2:TIDIG_COMP_CNT: 0
; COMPUTE_PGM_RSRC3_GFX90A:ACCUM_OFFSET: 9
; COMPUTE_PGM_RSRC3_GFX90A:TG_SPLIT: 0
	.section	.text._ZN5aiter23fused_qk_rmsnorm_kernelIDF16_Li256ELi8ELb1ELi1EEEvPT_S2_PKS1_S4_S4_S4_ffiiiiiii,"axG",@progbits,_ZN5aiter23fused_qk_rmsnorm_kernelIDF16_Li256ELi8ELb1ELi1EEEvPT_S2_PKS1_S4_S4_S4_ffiiiiiii,comdat
	.protected	_ZN5aiter23fused_qk_rmsnorm_kernelIDF16_Li256ELi8ELb1ELi1EEEvPT_S2_PKS1_S4_S4_S4_ffiiiiiii ; -- Begin function _ZN5aiter23fused_qk_rmsnorm_kernelIDF16_Li256ELi8ELb1ELi1EEEvPT_S2_PKS1_S4_S4_S4_ffiiiiiii
	.globl	_ZN5aiter23fused_qk_rmsnorm_kernelIDF16_Li256ELi8ELb1ELi1EEEvPT_S2_PKS1_S4_S4_S4_ffiiiiiii
	.p2align	8
	.type	_ZN5aiter23fused_qk_rmsnorm_kernelIDF16_Li256ELi8ELb1ELi1EEEvPT_S2_PKS1_S4_S4_S4_ffiiiiiii,@function
_ZN5aiter23fused_qk_rmsnorm_kernelIDF16_Li256ELi8ELb1ELi1EEEvPT_S2_PKS1_S4_S4_S4_ffiiiiiii: ; @_ZN5aiter23fused_qk_rmsnorm_kernelIDF16_Li256ELi8ELb1ELi1EEEvPT_S2_PKS1_S4_S4_S4_ffiiiiiii
; %bb.0:
	s_load_dwordx8 s[8:15], s[4:5], 0x30
	s_mov_b32 s0, s7
	s_mov_b32 s7, 0
	s_waitcnt lgkmcnt(0)
	s_ashr_i32 s1, s10, 31
	v_mov_b32_e32 v2, s10
	v_mov_b32_e32 v3, s1
	v_cmp_ge_i64_e32 vcc, s[6:7], v[2:3]
	s_cbranch_vccnz .LBB11_4
; %bb.1:
	s_load_dwordx8 s[16:23], s[4:5], 0x0
	s_load_dwordx4 s[24:27], s[4:5], 0x20
	s_load_dword s7, s[4:5], 0x50
	s_cmp_eq_u32 s0, 0
	s_cselect_b64 vcc, -1, 0
	s_and_b64 s[0:1], vcc, exec
	s_cselect_b32 s2, s13, s14
	s_cselect_b32 s10, s11, s12
	s_waitcnt lgkmcnt(0)
	s_cselect_b32 s1, s21, s23
	s_cselect_b32 s4, s20, s22
	;; [unrolled: 1-line block ×4, first 2 shown]
	s_ashr_i32 s3, s2, 31
	s_mul_i32 s3, s3, s6
	s_mul_hi_u32 s11, s2, s6
	s_add_i32 s3, s11, s3
	s_mul_i32 s2, s2, s6
	s_lshl_b64 s[2:3], s[2:3], 1
	s_add_u32 s20, s4, s2
	s_addc_u32 s1, s1, s3
	s_add_i32 s2, s10, 1
	s_lshr_b32 s3, s2, 31
	s_add_i32 s2, s2, s3
	s_lshl_b32 s2, s2, 1
	s_and_b32 s2, s2, -4
	s_mov_b32 s3, 0x20000
	v_lshlrev_b32_e32 v1, 4, v0
	s_and_b32 s21, s1, 0xffff
	s_mov_b32 s22, s2
	s_mov_b32 s23, s3
	buffer_load_dwordx4 v[14:17], v1, s[20:23], 0 offen glc slc
	s_and_b32 s1, s5, 0xffff
	buffer_load_dwordx4 v[2:5], v1, s[0:3], 0 offen
	v_and_b32_e32 v22, 63, v0
	v_cmp_eq_u32_e64 s[0:1], 63, v22
	s_waitcnt vmcnt(1)
	v_cvt_f32_f16_e32 v12, v14
	v_cvt_f32_f16_sdwa v13, v14 dst_sel:DWORD dst_unused:UNUSED_PAD src0_sel:WORD_1
	v_cvt_f32_f16_e32 v10, v15
	v_cvt_f32_f16_sdwa v11, v15 dst_sel:DWORD dst_unused:UNUSED_PAD src0_sel:WORD_1
	v_cvt_f32_f16_e32 v8, v16
	v_cvt_f32_f16_sdwa v9, v16 dst_sel:DWORD dst_unused:UNUSED_PAD src0_sel:WORD_1
	v_pk_mul_f32 v[14:15], v[12:13], v[12:13]
	v_cvt_f32_f16_e32 v6, v17
	v_cvt_f32_f16_sdwa v7, v17 dst_sel:DWORD dst_unused:UNUSED_PAD src0_sel:WORD_1
	v_pk_mul_f32 v[16:17], v[10:11], v[10:11]
	v_add_f32_e32 v14, v14, v15
	v_add_f32_e32 v14, v14, v16
	v_pk_mul_f32 v[18:19], v[8:9], v[8:9]
	v_add_f32_e32 v14, v14, v17
	v_add_f32_e32 v14, v14, v18
	;; [unrolled: 3-line block ×3, first 2 shown]
	v_add_f32_e32 v14, v14, v21
	s_nop 1
	v_mov_b32_dpp v15, v14 quad_perm:[1,0,3,2] row_mask:0xf bank_mask:0xf
	v_add_f32_e32 v14, v14, v15
	s_nop 1
	v_mov_b32_dpp v15, v14 quad_perm:[2,3,0,1] row_mask:0xf bank_mask:0xf
	v_add_f32_e32 v14, v14, v15
	s_nop 1
	v_mov_b32_dpp v15, v14 row_half_mirror row_mask:0xf bank_mask:0xf
	v_add_f32_e32 v14, v14, v15
	s_nop 1
	v_mov_b32_dpp v15, v14 row_mirror row_mask:0xf bank_mask:0xf
	v_add_f32_e32 v14, v14, v15
	s_nop 1
	v_mov_b32_dpp v15, v14 row_bcast:15 row_mask:0xf bank_mask:0xf
	v_add_f32_e32 v14, v14, v15
	s_nop 1
	v_mov_b32_dpp v15, v14 row_bcast:31 row_mask:0xf bank_mask:0xf
	s_and_saveexec_b64 s[4:5], s[0:1]
	s_cbranch_execz .LBB11_3
; %bb.2:
	v_add_f32_e32 v14, v14, v15
	v_lshrrev_b32_e32 v15, 4, v0
	v_and_b32_e32 v15, 60, v15
	ds_write_b32 v15, v14
.LBB11_3:
	s_or_b64 exec, exec, s[4:5]
	v_and_b32_e32 v0, 3, v0
	v_lshlrev_b32_e32 v0, 2, v0
	s_waitcnt lgkmcnt(0)
	s_barrier
	ds_read_b32 v0, v0
	v_mov_b32_e32 v17, s9
	v_mov_b32_e32 v18, s8
	v_cndmask_b32_e32 v17, v17, v18, vcc
	s_and_b64 s[0:1], vcc, exec
	s_waitcnt lgkmcnt(0)
	v_mov_b32_dpp v14, v0 quad_perm:[1,0,3,2] row_mask:0xf bank_mask:0xf
	v_add_f32_e32 v0, v0, v14
	v_cvt_f32_i32_e32 v14, s10
	s_cselect_b32 s4, s17, s19
	v_mov_b32_dpp v15, v0 quad_perm:[2,3,0,1] row_mask:0xf bank_mask:0xf
	v_add_f32_e32 v0, v0, v15
	v_div_scale_f32 v15, s[0:1], v14, v14, v0
	v_rcp_f32_e32 v16, v15
	s_mov_b32 s0, 0x800000
	s_cselect_b32 s5, s16, s18
	v_fma_f32 v18, -v15, v16, 1.0
	v_fmac_f32_e32 v16, v18, v16
	v_div_scale_f32 v18, vcc, v0, v14, v0
	v_mul_f32_e32 v19, v18, v16
	v_fma_f32 v20, -v15, v19, v18
	v_fmac_f32_e32 v19, v20, v16
	v_fma_f32 v15, -v15, v19, v18
	v_div_fmas_f32 v15, v15, v16, v19
	v_div_fixup_f32 v0, v15, v14, v0
	v_add_f32_e32 v0, v17, v0
	v_mul_f32_e32 v14, 0x4b800000, v0
	v_cmp_gt_f32_e32 vcc, s0, v0
	v_cndmask_b32_e32 v0, v0, v14, vcc
	v_rsq_f32_e32 v0, v0
	s_cselect_b32 s0, s15, s7
	s_waitcnt vmcnt(0)
	v_cvt_f32_f16_sdwa v17, v3 dst_sel:DWORD dst_unused:UNUSED_PAD src0_sel:WORD_1
	v_cvt_f32_f16_e32 v16, v3
	v_mul_f32_e32 v14, 0x45800000, v0
	v_cndmask_b32_e32 v14, v0, v14, vcc
	v_mov_b32_e32 v15, v14
	;;#ASMSTART
	v_pk_mul_f32 v[12:13], v[12:13], v[14:15]
	;;#ASMEND
	;;#ASMSTART
	v_pk_mul_f32 v[10:11], v[10:11], v[14:15]
	;;#ASMEND
	;; [unrolled: 3-line block ×4, first 2 shown]
	v_cvt_f32_f16_sdwa v15, v2 dst_sel:DWORD dst_unused:UNUSED_PAD src0_sel:WORD_1
	v_cvt_f32_f16_e32 v14, v2
	v_cvt_f32_f16_sdwa v3, v4 dst_sel:DWORD dst_unused:UNUSED_PAD src0_sel:WORD_1
	v_cvt_f32_f16_e32 v2, v4
	s_ashr_i32 s1, s0, 31
	v_cvt_f32_f16_sdwa v19, v5 dst_sel:DWORD dst_unused:UNUSED_PAD src0_sel:WORD_1
	v_cvt_f32_f16_e32 v18, v5
	;;#ASMSTART
	v_pk_mul_f32 v[4:5], v[12:13], v[14:15]
	;;#ASMEND
	;;#ASMSTART
	v_pk_mul_f32 v[10:11], v[10:11], v[16:17]
	;;#ASMEND
	;; [unrolled: 3-line block ×4, first 2 shown]
	s_mul_i32 s1, s1, s6
	s_mul_hi_u32 s7, s0, s6
	s_add_i32 s1, s7, s1
	s_mul_i32 s0, s0, s6
	v_cvt_f16_f32_e32 v0, v4
	v_cvt_f16_f32_e32 v4, v5
	;; [unrolled: 1-line block ×8, first 2 shown]
	s_lshl_b64 s[0:1], s[0:1], 1
	s_add_u32 s0, s5, s0
	s_addc_u32 s1, s4, s1
	s_and_b32 s1, s1, 0xffff
	v_pack_b32_f16 v2, v0, v4
	v_pack_b32_f16 v3, v5, v8
	;; [unrolled: 1-line block ×4, first 2 shown]
	buffer_store_dwordx4 v[2:5], v1, s[0:3], 0 offen
	;;#ASMSTART
	s_nop 0
	;;#ASMEND
.LBB11_4:
	s_endpgm
	.section	.rodata,"a",@progbits
	.p2align	6, 0x0
	.amdhsa_kernel _ZN5aiter23fused_qk_rmsnorm_kernelIDF16_Li256ELi8ELb1ELi1EEEvPT_S2_PKS1_S4_S4_S4_ffiiiiiii
		.amdhsa_group_segment_fixed_size 16
		.amdhsa_private_segment_fixed_size 0
		.amdhsa_kernarg_size 84
		.amdhsa_user_sgpr_count 6
		.amdhsa_user_sgpr_private_segment_buffer 1
		.amdhsa_user_sgpr_dispatch_ptr 0
		.amdhsa_user_sgpr_queue_ptr 0
		.amdhsa_user_sgpr_kernarg_segment_ptr 1
		.amdhsa_user_sgpr_dispatch_id 0
		.amdhsa_user_sgpr_flat_scratch_init 0
		.amdhsa_user_sgpr_kernarg_preload_length 0
		.amdhsa_user_sgpr_kernarg_preload_offset 0
		.amdhsa_user_sgpr_private_segment_size 0
		.amdhsa_uses_dynamic_stack 0
		.amdhsa_system_sgpr_private_segment_wavefront_offset 0
		.amdhsa_system_sgpr_workgroup_id_x 1
		.amdhsa_system_sgpr_workgroup_id_y 1
		.amdhsa_system_sgpr_workgroup_id_z 0
		.amdhsa_system_sgpr_workgroup_info 0
		.amdhsa_system_vgpr_workitem_id 0
		.amdhsa_next_free_vgpr 23
		.amdhsa_next_free_sgpr 28
		.amdhsa_accum_offset 24
		.amdhsa_reserve_vcc 1
		.amdhsa_reserve_flat_scratch 0
		.amdhsa_float_round_mode_32 0
		.amdhsa_float_round_mode_16_64 0
		.amdhsa_float_denorm_mode_32 3
		.amdhsa_float_denorm_mode_16_64 3
		.amdhsa_dx10_clamp 1
		.amdhsa_ieee_mode 1
		.amdhsa_fp16_overflow 0
		.amdhsa_tg_split 0
		.amdhsa_exception_fp_ieee_invalid_op 0
		.amdhsa_exception_fp_denorm_src 0
		.amdhsa_exception_fp_ieee_div_zero 0
		.amdhsa_exception_fp_ieee_overflow 0
		.amdhsa_exception_fp_ieee_underflow 0
		.amdhsa_exception_fp_ieee_inexact 0
		.amdhsa_exception_int_div_zero 0
	.end_amdhsa_kernel
	.section	.text._ZN5aiter23fused_qk_rmsnorm_kernelIDF16_Li256ELi8ELb1ELi1EEEvPT_S2_PKS1_S4_S4_S4_ffiiiiiii,"axG",@progbits,_ZN5aiter23fused_qk_rmsnorm_kernelIDF16_Li256ELi8ELb1ELi1EEEvPT_S2_PKS1_S4_S4_S4_ffiiiiiii,comdat
.Lfunc_end11:
	.size	_ZN5aiter23fused_qk_rmsnorm_kernelIDF16_Li256ELi8ELb1ELi1EEEvPT_S2_PKS1_S4_S4_S4_ffiiiiiii, .Lfunc_end11-_ZN5aiter23fused_qk_rmsnorm_kernelIDF16_Li256ELi8ELb1ELi1EEEvPT_S2_PKS1_S4_S4_S4_ffiiiiiii
                                        ; -- End function
	.section	.AMDGPU.csdata,"",@progbits
; Kernel info:
; codeLenInByte = 900
; NumSgprs: 32
; NumVgprs: 23
; NumAgprs: 0
; TotalNumVgprs: 23
; ScratchSize: 0
; MemoryBound: 0
; FloatMode: 240
; IeeeMode: 1
; LDSByteSize: 16 bytes/workgroup (compile time only)
; SGPRBlocks: 3
; VGPRBlocks: 2
; NumSGPRsForWavesPerEU: 32
; NumVGPRsForWavesPerEU: 23
; AccumOffset: 24
; Occupancy: 8
; WaveLimiterHint : 0
; COMPUTE_PGM_RSRC2:SCRATCH_EN: 0
; COMPUTE_PGM_RSRC2:USER_SGPR: 6
; COMPUTE_PGM_RSRC2:TRAP_HANDLER: 0
; COMPUTE_PGM_RSRC2:TGID_X_EN: 1
; COMPUTE_PGM_RSRC2:TGID_Y_EN: 1
; COMPUTE_PGM_RSRC2:TGID_Z_EN: 0
; COMPUTE_PGM_RSRC2:TIDIG_COMP_CNT: 0
; COMPUTE_PGM_RSRC3_GFX90A:ACCUM_OFFSET: 5
; COMPUTE_PGM_RSRC3_GFX90A:TG_SPLIT: 0
	.section	.text._ZN5aiter23fused_qk_rmsnorm_kernelItLi256ELi8ELb1ELi1EEEvPT_S2_PKS1_S4_S4_S4_ffiiiiiii,"axG",@progbits,_ZN5aiter23fused_qk_rmsnorm_kernelItLi256ELi8ELb1ELi1EEEvPT_S2_PKS1_S4_S4_S4_ffiiiiiii,comdat
	.protected	_ZN5aiter23fused_qk_rmsnorm_kernelItLi256ELi8ELb1ELi1EEEvPT_S2_PKS1_S4_S4_S4_ffiiiiiii ; -- Begin function _ZN5aiter23fused_qk_rmsnorm_kernelItLi256ELi8ELb1ELi1EEEvPT_S2_PKS1_S4_S4_S4_ffiiiiiii
	.globl	_ZN5aiter23fused_qk_rmsnorm_kernelItLi256ELi8ELb1ELi1EEEvPT_S2_PKS1_S4_S4_S4_ffiiiiiii
	.p2align	8
	.type	_ZN5aiter23fused_qk_rmsnorm_kernelItLi256ELi8ELb1ELi1EEEvPT_S2_PKS1_S4_S4_S4_ffiiiiiii,@function
_ZN5aiter23fused_qk_rmsnorm_kernelItLi256ELi8ELb1ELi1EEEvPT_S2_PKS1_S4_S4_S4_ffiiiiiii: ; @_ZN5aiter23fused_qk_rmsnorm_kernelItLi256ELi8ELb1ELi1EEEvPT_S2_PKS1_S4_S4_S4_ffiiiiiii
; %bb.0:
	s_load_dwordx8 s[8:15], s[4:5], 0x30
	s_mov_b32 s0, s7
	s_mov_b32 s7, 0
	s_waitcnt lgkmcnt(0)
	s_ashr_i32 s1, s10, 31
	v_mov_b32_e32 v2, s10
	v_mov_b32_e32 v3, s1
	v_cmp_ge_i64_e32 vcc, s[6:7], v[2:3]
	s_cbranch_vccnz .LBB12_4
; %bb.1:
	s_load_dwordx8 s[16:23], s[4:5], 0x0
	s_load_dwordx4 s[24:27], s[4:5], 0x20
	s_load_dword s7, s[4:5], 0x50
	s_cmp_eq_u32 s0, 0
	s_cselect_b64 vcc, -1, 0
	s_and_b64 s[0:1], vcc, exec
	s_cselect_b32 s2, s13, s14
	s_cselect_b32 s10, s11, s12
	s_waitcnt lgkmcnt(0)
	s_cselect_b32 s1, s21, s23
	s_cselect_b32 s4, s20, s22
	;; [unrolled: 1-line block ×4, first 2 shown]
	s_ashr_i32 s3, s2, 31
	s_mul_i32 s3, s3, s6
	s_mul_hi_u32 s11, s2, s6
	s_add_i32 s3, s11, s3
	s_mul_i32 s2, s2, s6
	s_lshl_b64 s[2:3], s[2:3], 1
	s_add_u32 s20, s4, s2
	s_addc_u32 s1, s1, s3
	s_add_i32 s2, s10, 1
	s_lshr_b32 s3, s2, 31
	s_add_i32 s2, s2, s3
	s_lshl_b32 s2, s2, 1
	s_and_b32 s2, s2, -4
	s_mov_b32 s3, 0x20000
	v_lshlrev_b32_e32 v1, 4, v0
	s_and_b32 s21, s1, 0xffff
	s_mov_b32 s22, s2
	s_mov_b32 s23, s3
	buffer_load_dwordx4 v[14:17], v1, s[20:23], 0 offen glc slc
	s_and_b32 s1, s5, 0xffff
	buffer_load_dwordx4 v[2:5], v1, s[0:3], 0 offen
	v_and_b32_e32 v22, 63, v0
	v_cmp_eq_u32_e64 s[0:1], 63, v22
	s_waitcnt vmcnt(1)
	v_and_b32_e32 v13, 0xffff0000, v14
	v_lshlrev_b32_e32 v12, 16, v14
	v_and_b32_e32 v11, 0xffff0000, v15
	v_lshlrev_b32_e32 v10, 16, v15
	v_pk_mul_f32 v[14:15], v[12:13], v[12:13]
	v_and_b32_e32 v9, 0xffff0000, v16
	v_lshlrev_b32_e32 v8, 16, v16
	v_and_b32_e32 v7, 0xffff0000, v17
	v_lshlrev_b32_e32 v6, 16, v17
	v_pk_mul_f32 v[16:17], v[10:11], v[10:11]
	v_add_f32_e32 v14, v14, v15
	v_add_f32_e32 v14, v14, v16
	v_pk_mul_f32 v[18:19], v[8:9], v[8:9]
	v_add_f32_e32 v14, v14, v17
	v_add_f32_e32 v14, v14, v18
	v_pk_mul_f32 v[20:21], v[6:7], v[6:7]
	v_add_f32_e32 v14, v14, v19
	v_add_f32_e32 v14, v14, v20
	v_add_f32_e32 v14, v14, v21
	s_nop 1
	v_mov_b32_dpp v15, v14 quad_perm:[1,0,3,2] row_mask:0xf bank_mask:0xf
	v_add_f32_e32 v14, v14, v15
	s_nop 1
	v_mov_b32_dpp v15, v14 quad_perm:[2,3,0,1] row_mask:0xf bank_mask:0xf
	v_add_f32_e32 v14, v14, v15
	s_nop 1
	v_mov_b32_dpp v15, v14 row_half_mirror row_mask:0xf bank_mask:0xf
	v_add_f32_e32 v14, v14, v15
	s_nop 1
	v_mov_b32_dpp v15, v14 row_mirror row_mask:0xf bank_mask:0xf
	v_add_f32_e32 v14, v14, v15
	s_nop 1
	v_mov_b32_dpp v15, v14 row_bcast:15 row_mask:0xf bank_mask:0xf
	v_add_f32_e32 v14, v14, v15
	s_nop 1
	v_mov_b32_dpp v15, v14 row_bcast:31 row_mask:0xf bank_mask:0xf
	s_and_saveexec_b64 s[4:5], s[0:1]
	s_cbranch_execz .LBB12_3
; %bb.2:
	v_add_f32_e32 v14, v14, v15
	v_lshrrev_b32_e32 v15, 4, v0
	v_and_b32_e32 v15, 60, v15
	ds_write_b32 v15, v14
.LBB12_3:
	s_or_b64 exec, exec, s[4:5]
	v_and_b32_e32 v0, 3, v0
	v_lshlrev_b32_e32 v0, 2, v0
	s_waitcnt lgkmcnt(0)
	s_barrier
	ds_read_b32 v0, v0
	v_mov_b32_e32 v17, s9
	v_mov_b32_e32 v18, s8
	v_cndmask_b32_e32 v17, v17, v18, vcc
	s_and_b64 s[0:1], vcc, exec
	s_waitcnt lgkmcnt(0)
	v_mov_b32_dpp v14, v0 quad_perm:[1,0,3,2] row_mask:0xf bank_mask:0xf
	v_add_f32_e32 v0, v0, v14
	v_cvt_f32_i32_e32 v14, s10
	s_cselect_b32 s4, s17, s19
	v_mov_b32_dpp v15, v0 quad_perm:[2,3,0,1] row_mask:0xf bank_mask:0xf
	v_add_f32_e32 v0, v0, v15
	v_div_scale_f32 v15, s[0:1], v14, v14, v0
	v_rcp_f32_e32 v16, v15
	s_mov_b32 s0, 0x800000
	s_cselect_b32 s5, s16, s18
	v_fma_f32 v18, -v15, v16, 1.0
	v_fmac_f32_e32 v16, v18, v16
	v_div_scale_f32 v18, vcc, v0, v14, v0
	v_mul_f32_e32 v19, v18, v16
	v_fma_f32 v20, -v15, v19, v18
	v_fmac_f32_e32 v19, v20, v16
	v_fma_f32 v15, -v15, v19, v18
	v_div_fmas_f32 v15, v15, v16, v19
	v_div_fixup_f32 v0, v15, v14, v0
	v_add_f32_e32 v0, v17, v0
	v_mul_f32_e32 v14, 0x4b800000, v0
	v_cmp_gt_f32_e32 vcc, s0, v0
	v_cndmask_b32_e32 v0, v0, v14, vcc
	v_rsq_f32_e32 v0, v0
	s_cselect_b32 s0, s15, s7
	s_ashr_i32 s1, s0, 31
	s_mul_i32 s1, s1, s6
	s_mul_hi_u32 s7, s0, s6
	v_mul_f32_e32 v14, 0x45800000, v0
	s_add_i32 s1, s7, s1
	s_mul_i32 s0, s0, s6
	v_cndmask_b32_e32 v14, v0, v14, vcc
	s_lshl_b64 s[0:1], s[0:1], 1
	v_mov_b32_e32 v15, v14
	s_add_u32 s0, s5, s0
	;;#ASMSTART
	v_pk_mul_f32 v[12:13], v[12:13], v[14:15]
	;;#ASMEND
	;;#ASMSTART
	v_pk_mul_f32 v[10:11], v[10:11], v[14:15]
	;;#ASMEND
	;; [unrolled: 3-line block ×4, first 2 shown]
	s_waitcnt vmcnt(0)
	v_cvt_f32_u32_sdwa v15, v2 dst_sel:DWORD dst_unused:UNUSED_PAD src0_sel:WORD_1
	v_cvt_f32_u32_sdwa v14, v2 dst_sel:DWORD dst_unused:UNUSED_PAD src0_sel:WORD_0
	v_cvt_f32_u32_sdwa v17, v3 dst_sel:DWORD dst_unused:UNUSED_PAD src0_sel:WORD_1
	v_cvt_f32_u32_sdwa v16, v3 dst_sel:DWORD dst_unused:UNUSED_PAD src0_sel:WORD_0
	;; [unrolled: 2-line block ×4, first 2 shown]
	;;#ASMSTART
	v_pk_mul_f32 v[4:5], v[12:13], v[14:15]
	;;#ASMEND
	s_addc_u32 s1, s4, s1
	s_mov_b32 s4, 0x7060302
	;;#ASMSTART
	v_pk_mul_f32 v[10:11], v[10:11], v[16:17]
	;;#ASMEND
	;;#ASMSTART
	v_pk_mul_f32 v[8:9], v[8:9], v[2:3]
	;;#ASMEND
	;; [unrolled: 3-line block ×3, first 2 shown]
	s_and_b32 s1, s1, 0xffff
	v_perm_b32 v2, v5, v4, s4
	v_perm_b32 v3, v11, v10, s4
	v_perm_b32 v4, v9, v8, s4
	v_perm_b32 v5, v7, v6, s4
	buffer_store_dwordx4 v[2:5], v1, s[0:3], 0 offen
	;;#ASMSTART
	s_nop 0
	;;#ASMEND
.LBB12_4:
	s_endpgm
	.section	.rodata,"a",@progbits
	.p2align	6, 0x0
	.amdhsa_kernel _ZN5aiter23fused_qk_rmsnorm_kernelItLi256ELi8ELb1ELi1EEEvPT_S2_PKS1_S4_S4_S4_ffiiiiiii
		.amdhsa_group_segment_fixed_size 16
		.amdhsa_private_segment_fixed_size 0
		.amdhsa_kernarg_size 84
		.amdhsa_user_sgpr_count 6
		.amdhsa_user_sgpr_private_segment_buffer 1
		.amdhsa_user_sgpr_dispatch_ptr 0
		.amdhsa_user_sgpr_queue_ptr 0
		.amdhsa_user_sgpr_kernarg_segment_ptr 1
		.amdhsa_user_sgpr_dispatch_id 0
		.amdhsa_user_sgpr_flat_scratch_init 0
		.amdhsa_user_sgpr_kernarg_preload_length 0
		.amdhsa_user_sgpr_kernarg_preload_offset 0
		.amdhsa_user_sgpr_private_segment_size 0
		.amdhsa_uses_dynamic_stack 0
		.amdhsa_system_sgpr_private_segment_wavefront_offset 0
		.amdhsa_system_sgpr_workgroup_id_x 1
		.amdhsa_system_sgpr_workgroup_id_y 1
		.amdhsa_system_sgpr_workgroup_id_z 0
		.amdhsa_system_sgpr_workgroup_info 0
		.amdhsa_system_vgpr_workitem_id 0
		.amdhsa_next_free_vgpr 23
		.amdhsa_next_free_sgpr 28
		.amdhsa_accum_offset 24
		.amdhsa_reserve_vcc 1
		.amdhsa_reserve_flat_scratch 0
		.amdhsa_float_round_mode_32 0
		.amdhsa_float_round_mode_16_64 0
		.amdhsa_float_denorm_mode_32 3
		.amdhsa_float_denorm_mode_16_64 3
		.amdhsa_dx10_clamp 1
		.amdhsa_ieee_mode 1
		.amdhsa_fp16_overflow 0
		.amdhsa_tg_split 0
		.amdhsa_exception_fp_ieee_invalid_op 0
		.amdhsa_exception_fp_denorm_src 0
		.amdhsa_exception_fp_ieee_div_zero 0
		.amdhsa_exception_fp_ieee_overflow 0
		.amdhsa_exception_fp_ieee_underflow 0
		.amdhsa_exception_fp_ieee_inexact 0
		.amdhsa_exception_int_div_zero 0
	.end_amdhsa_kernel
	.section	.text._ZN5aiter23fused_qk_rmsnorm_kernelItLi256ELi8ELb1ELi1EEEvPT_S2_PKS1_S4_S4_S4_ffiiiiiii,"axG",@progbits,_ZN5aiter23fused_qk_rmsnorm_kernelItLi256ELi8ELb1ELi1EEEvPT_S2_PKS1_S4_S4_S4_ffiiiiiii,comdat
.Lfunc_end12:
	.size	_ZN5aiter23fused_qk_rmsnorm_kernelItLi256ELi8ELb1ELi1EEEvPT_S2_PKS1_S4_S4_S4_ffiiiiiii, .Lfunc_end12-_ZN5aiter23fused_qk_rmsnorm_kernelItLi256ELi8ELb1ELi1EEEvPT_S2_PKS1_S4_S4_S4_ffiiiiiii
                                        ; -- End function
	.section	.AMDGPU.csdata,"",@progbits
; Kernel info:
; codeLenInByte = 892
; NumSgprs: 32
; NumVgprs: 23
; NumAgprs: 0
; TotalNumVgprs: 23
; ScratchSize: 0
; MemoryBound: 0
; FloatMode: 240
; IeeeMode: 1
; LDSByteSize: 16 bytes/workgroup (compile time only)
; SGPRBlocks: 3
; VGPRBlocks: 2
; NumSGPRsForWavesPerEU: 32
; NumVGPRsForWavesPerEU: 23
; AccumOffset: 24
; Occupancy: 8
; WaveLimiterHint : 0
; COMPUTE_PGM_RSRC2:SCRATCH_EN: 0
; COMPUTE_PGM_RSRC2:USER_SGPR: 6
; COMPUTE_PGM_RSRC2:TRAP_HANDLER: 0
; COMPUTE_PGM_RSRC2:TGID_X_EN: 1
; COMPUTE_PGM_RSRC2:TGID_Y_EN: 1
; COMPUTE_PGM_RSRC2:TGID_Z_EN: 0
; COMPUTE_PGM_RSRC2:TIDIG_COMP_CNT: 0
; COMPUTE_PGM_RSRC3_GFX90A:ACCUM_OFFSET: 5
; COMPUTE_PGM_RSRC3_GFX90A:TG_SPLIT: 0
	.section	.text._ZN5aiter23fused_qk_rmsnorm_kernelIDF16_Li256ELi16ELb1ELi2EEEvPT_S2_PKS1_S4_S4_S4_ffiiiiiii,"axG",@progbits,_ZN5aiter23fused_qk_rmsnorm_kernelIDF16_Li256ELi16ELb1ELi2EEEvPT_S2_PKS1_S4_S4_S4_ffiiiiiii,comdat
	.protected	_ZN5aiter23fused_qk_rmsnorm_kernelIDF16_Li256ELi16ELb1ELi2EEEvPT_S2_PKS1_S4_S4_S4_ffiiiiiii ; -- Begin function _ZN5aiter23fused_qk_rmsnorm_kernelIDF16_Li256ELi16ELb1ELi2EEEvPT_S2_PKS1_S4_S4_S4_ffiiiiiii
	.globl	_ZN5aiter23fused_qk_rmsnorm_kernelIDF16_Li256ELi16ELb1ELi2EEEvPT_S2_PKS1_S4_S4_S4_ffiiiiiii
	.p2align	8
	.type	_ZN5aiter23fused_qk_rmsnorm_kernelIDF16_Li256ELi16ELb1ELi2EEEvPT_S2_PKS1_S4_S4_S4_ffiiiiiii,@function
_ZN5aiter23fused_qk_rmsnorm_kernelIDF16_Li256ELi16ELb1ELi2EEEvPT_S2_PKS1_S4_S4_S4_ffiiiiiii: ; @_ZN5aiter23fused_qk_rmsnorm_kernelIDF16_Li256ELi16ELb1ELi2EEEvPT_S2_PKS1_S4_S4_S4_ffiiiiiii
; %bb.0:
	s_load_dwordx8 s[8:15], s[4:5], 0x30
	s_mov_b32 s0, s6
	s_mov_b32 s1, 0
	s_lshl_b64 s[16:17], s[0:1], 1
	s_waitcnt lgkmcnt(0)
	s_ashr_i32 s19, s10, 31
	s_mov_b32 s18, s10
	v_pk_mov_b32 v[2:3], s[18:19], s[18:19] op_sel:[0,1]
	v_cmp_ge_i64_e32 vcc, s[16:17], v[2:3]
	s_cbranch_vccnz .LBB13_10
; %bb.1:
	s_load_dwordx8 s[24:31], s[4:5], 0x0
	s_load_dwordx4 s[0:3], s[4:5], 0x20
	s_load_dword s6, s[4:5], 0x50
	s_cmp_eq_u32 s7, 0
	s_cselect_b64 vcc, -1, 0
	s_and_b64 s[4:5], vcc, exec
	v_mov_b32_e32 v2, s8
	s_waitcnt lgkmcnt(0)
	s_cselect_b32 s8, s0, s2
	s_cselect_b32 s2, s13, s14
	;; [unrolled: 1-line block ×9, first 2 shown]
	s_ashr_i32 s3, s2, 31
	s_mul_i32 s0, s16, s3
	s_mul_hi_u32 s1, s16, s2
	s_add_i32 s0, s1, s0
	s_mul_i32 s1, s17, s2
	s_add_i32 s1, s0, s1
	s_mul_i32 s0, s16, s2
	s_lshl_b64 s[0:1], s[0:1], 1
	s_add_u32 s4, s4, s0
	s_addc_u32 s13, s5, s1
	s_add_i32 s0, s12, 1
	s_lshr_b32 s1, s0, 31
	v_mov_b32_e32 v1, s9
	s_add_i32 s0, s0, s1
	v_cndmask_b32_e32 v42, v1, v2, vcc
	s_lshl_b32 s0, s0, 1
	v_lshlrev_b32_e32 v2, 5, v0
	s_and_b32 s10, s0, -4
	v_lshlrev_b32_e32 v1, 4, v0
	v_and_b32_e32 v2, 0x7800, v2
	s_movk_i32 s0, 0x3f0
	s_and_b32 s9, s7, 0xffff
	s_mov_b32 s11, 0x20000
	v_and_or_b32 v43, v1, s0, v2
	s_movk_i32 s25, 0x400
	buffer_load_dwordx4 v[2:5], v43, s[8:11], 0 offen
	buffer_load_dwordx4 v[28:31], v43, s[8:11], s25 offen
	s_and_b32 s5, s13, 0xffff
	s_mov_b32 s6, s10
	s_mov_b32 s7, s11
	buffer_load_dwordx4 v[8:11], v43, s[4:7], 0 offen glc slc
	buffer_load_dwordx4 v[12:15], v43, s[4:7], s25 offen glc slc
	v_lshrrev_b32_e32 v16, 4, v0
	v_and_b32_e32 v44, 60, v16
	v_cvt_f32_i32_e32 v46, s12
	s_or_b32 s6, s16, 1
	s_lshl_b64 s[8:9], s[2:3], 1
	s_add_u32 s12, s4, s8
	s_mov_b32 s7, s17
	v_pk_mov_b32 v[6:7], s[18:19], s[18:19] op_sel:[0,1]
	v_and_b32_e32 v1, 63, v0
	v_and_b32_e32 v0, 3, v0
	s_addc_u32 s4, s13, s9
	v_cmp_eq_u32_e64 s[0:1], 63, v1
	v_lshlrev_b32_e32 v45, 2, v0
	v_cmp_lt_u64_e64 s[2:3], s[6:7], v[6:7]
	s_mov_b64 s[14:15], s[10:11]
	s_ashr_i32 s26, s24, 31
	s_and_b32 s13, s4, 0xffff
	s_mov_b64 s[4:5], 0
	s_mov_b64 s[6:7], -1
	s_mov_b32 s27, 0x800000
	s_waitcnt vmcnt(3)
	v_cvt_f32_f16_e32 v16, v2
	v_cvt_f32_f16_sdwa v17, v2 dst_sel:DWORD dst_unused:UNUSED_PAD src0_sel:WORD_1
	v_cvt_f32_f16_e32 v18, v3
	v_cvt_f32_f16_sdwa v19, v3 dst_sel:DWORD dst_unused:UNUSED_PAD src0_sel:WORD_1
	;; [unrolled: 2-line block ×4, first 2 shown]
	s_waitcnt vmcnt(2)
	v_cvt_f32_f16_e32 v24, v28
	v_cvt_f32_f16_sdwa v25, v28 dst_sel:DWORD dst_unused:UNUSED_PAD src0_sel:WORD_1
	v_cvt_f32_f16_e32 v26, v29
	v_cvt_f32_f16_sdwa v27, v29 dst_sel:DWORD dst_unused:UNUSED_PAD src0_sel:WORD_1
	;; [unrolled: 2-line block ×4, first 2 shown]
	s_branch .LBB13_4
.LBB13_2:                               ;   in Loop: Header=BB13_4 Depth=1
	s_or_b64 exec, exec, s[20:21]
	s_waitcnt lgkmcnt(0)
	s_barrier
	ds_read_b32 v14, v45
	s_mul_i32 s9, s9, s24
	s_waitcnt lgkmcnt(0)
	v_mov_b32_dpp v15, v14 quad_perm:[1,0,3,2] row_mask:0xf bank_mask:0xf
	v_add_f32_e32 v14, v14, v15
	s_nop 1
	v_mov_b32_dpp v15, v14 quad_perm:[2,3,0,1] row_mask:0xf bank_mask:0xf
	v_add_f32_e32 v14, v14, v15
	v_div_scale_f32 v15, s[20:21], v46, v46, v14
	v_rcp_f32_e32 v47, v15
	v_div_scale_f32 v48, vcc, v14, v46, v14
	s_mul_i32 s20, s8, s26
	v_fma_f32 v49, -v15, v47, 1.0
	v_fmac_f32_e32 v47, v49, v47
	v_mul_f32_e32 v49, v48, v47
	v_fma_f32 v50, -v15, v49, v48
	v_fmac_f32_e32 v49, v50, v47
	v_fma_f32 v15, -v15, v49, v48
	v_div_fmas_f32 v15, v15, v47, v49
	v_div_fixup_f32 v14, v15, v46, v14
	v_add_f32_e32 v14, v42, v14
	v_mul_f32_e32 v15, 0x4b800000, v14
	v_cmp_gt_f32_e32 vcc, s27, v14
	v_cndmask_b32_e32 v14, v14, v15, vcc
	v_rsq_f32_e32 v14, v14
	s_mul_hi_u32 s21, s8, s24
	s_add_i32 s20, s21, s20
	s_add_i32 s9, s20, s9
	v_mul_f32_e32 v15, 0x45800000, v14
	v_cndmask_b32_e32 v14, v14, v15, vcc
	v_mov_b32_e32 v15, v14
	;;#ASMSTART
	v_pk_mul_f32 v[32:33], v[32:33], v[14:15]
	;;#ASMEND
	;;#ASMSTART
	v_pk_mul_f32 v[34:35], v[34:35], v[14:15]
	;;#ASMEND
	;; [unrolled: 3-line block ×13, first 2 shown]
	s_mul_i32 s8, s8, s24
	v_cvt_f16_f32_e32 v10, v32
	v_cvt_f16_f32_e32 v11, v33
	;; [unrolled: 1-line block ×8, first 2 shown]
	s_lshl_b64 s[8:9], s[8:9], 1
	s_add_u32 s8, s23, s8
	s_addc_u32 s9, s22, s9
	;;#ASMSTART
	v_pk_mul_f32 v[38:39], v[38:39], v[26:27]
	;;#ASMEND
	;;#ASMSTART
	v_pk_mul_f32 v[12:13], v[12:13], v[28:29]
	;;#ASMEND
	;; [unrolled: 3-line block ×3, first 2 shown]
	s_and_b32 s9, s9, 0xffff
	v_pack_b32_f16 v8, v10, v11
	v_pack_b32_f16 v9, v32, v33
	;; [unrolled: 1-line block ×4, first 2 shown]
	buffer_store_dwordx4 v[8:11], v43, s[8:11], 0 offen
	v_cvt_f16_f32_e32 v12, v12
	v_cvt_f16_f32_e32 v8, v40
	;; [unrolled: 1-line block ×8, first 2 shown]
	v_pack_b32_f16 v8, v8, v9
	v_pack_b32_f16 v9, v10, v11
	;; [unrolled: 1-line block ×4, first 2 shown]
	;;#ASMSTART
	s_nop 0
	;;#ASMEND
	buffer_store_dwordx4 v[8:11], v43, s[8:11], s25 offen
	;;#ASMSTART
	s_nop 0
	;;#ASMEND
.LBB13_3:                               ;   in Loop: Header=BB13_4 Depth=1
	s_and_b64 s[8:9], s[4:5], s[6:7]
	s_waitcnt vmcnt(2)
	v_pk_mov_b32 v[14:15], v[6:7], v[6:7] op_sel:[0,1]
	s_mov_b64 s[4:5], 1
	s_mov_b64 s[6:7], 0
	s_and_b64 vcc, exec, s[8:9]
	v_pk_mov_b32 v[12:13], v[4:5], v[4:5] op_sel:[0,1]
	v_pk_mov_b32 v[10:11], v[2:3], v[2:3] op_sel:[0,1]
	;; [unrolled: 1-line block ×3, first 2 shown]
	s_cbranch_vccz .LBB13_10
.LBB13_4:                               ; =>This Inner Loop Header: Depth=1
	s_or_b64 s[8:9], s[16:17], s[4:5]
	v_pk_mov_b32 v[0:1], s[18:19], s[18:19] op_sel:[0,1]
	v_cmp_ge_i64_e32 vcc, s[8:9], v[0:1]
	v_cmp_lt_i64_e64 s[4:5], s[8:9], v[0:1]
	s_cbranch_vccnz .LBB13_9
; %bb.5:                                ;   in Loop: Header=BB13_4 Depth=1
	s_and_b64 s[20:21], s[6:7], s[2:3]
	s_waitcnt vmcnt(0)
	v_pk_mov_b32 v[0:1], v[8:9], v[8:9] op_sel:[0,1]
	s_andn2_b64 vcc, exec, s[20:21]
	v_pk_mov_b32 v[2:3], v[10:11], v[10:11] op_sel:[0,1]
	v_pk_mov_b32 v[4:5], v[12:13], v[12:13] op_sel:[0,1]
	;; [unrolled: 1-line block ×3, first 2 shown]
	s_cbranch_vccnz .LBB13_7
; %bb.6:                                ;   in Loop: Header=BB13_4 Depth=1
	buffer_load_dwordx4 v[0:3], v43, s[12:15], 0 offen glc slc
	buffer_load_dwordx4 v[4:7], v43, s[12:15], s25 offen glc slc
.LBB13_7:                               ;   in Loop: Header=BB13_4 Depth=1
	v_cvt_f32_f16_sdwa v33, v8 dst_sel:DWORD dst_unused:UNUSED_PAD src0_sel:WORD_1
	v_cvt_f32_f16_e32 v32, v8
	v_cvt_f32_f16_sdwa v35, v9 dst_sel:DWORD dst_unused:UNUSED_PAD src0_sel:WORD_1
	v_cvt_f32_f16_e32 v34, v9
	;; [unrolled: 2-line block ×8, first 2 shown]
	v_pk_mul_f32 v[14:15], v[32:33], v[32:33]
	v_pk_mul_f32 v[48:49], v[34:35], v[34:35]
	v_add_f32_e32 v14, v14, v15
	v_add_f32_e32 v14, v14, v48
	v_pk_mul_f32 v[50:51], v[8:9], v[8:9]
	v_add_f32_e32 v14, v14, v49
	v_add_f32_e32 v14, v14, v50
	;; [unrolled: 3-line block ×7, first 2 shown]
	v_add_f32_e32 v14, v14, v61
	s_nop 1
	v_mov_b32_dpp v15, v14 quad_perm:[1,0,3,2] row_mask:0xf bank_mask:0xf
	v_add_f32_e32 v14, v14, v15
	s_nop 1
	v_mov_b32_dpp v15, v14 quad_perm:[2,3,0,1] row_mask:0xf bank_mask:0xf
	v_add_f32_e32 v14, v14, v15
	s_nop 1
	v_mov_b32_dpp v15, v14 row_half_mirror row_mask:0xf bank_mask:0xf
	v_add_f32_e32 v14, v14, v15
	s_nop 1
	v_mov_b32_dpp v15, v14 row_mirror row_mask:0xf bank_mask:0xf
	v_add_f32_e32 v14, v14, v15
	s_nop 1
	v_mov_b32_dpp v15, v14 row_bcast:15 row_mask:0xf bank_mask:0xf
	v_add_f32_e32 v14, v14, v15
	s_nop 1
	v_mov_b32_dpp v15, v14 row_bcast:31 row_mask:0xf bank_mask:0xf
	s_and_saveexec_b64 s[20:21], s[0:1]
	s_cbranch_execz .LBB13_2
; %bb.8:                                ;   in Loop: Header=BB13_4 Depth=1
	v_add_f32_e32 v14, v14, v15
	ds_write_b32 v44, v14
	s_branch .LBB13_2
.LBB13_9:                               ;   in Loop: Header=BB13_4 Depth=1
	s_waitcnt vmcnt(0)
	v_pk_mov_b32 v[0:1], v[8:9], v[8:9] op_sel:[0,1]
	v_pk_mov_b32 v[2:3], v[10:11], v[10:11] op_sel:[0,1]
	;; [unrolled: 1-line block ×4, first 2 shown]
	s_branch .LBB13_3
.LBB13_10:
	s_endpgm
	.section	.rodata,"a",@progbits
	.p2align	6, 0x0
	.amdhsa_kernel _ZN5aiter23fused_qk_rmsnorm_kernelIDF16_Li256ELi16ELb1ELi2EEEvPT_S2_PKS1_S4_S4_S4_ffiiiiiii
		.amdhsa_group_segment_fixed_size 16
		.amdhsa_private_segment_fixed_size 0
		.amdhsa_kernarg_size 84
		.amdhsa_user_sgpr_count 6
		.amdhsa_user_sgpr_private_segment_buffer 1
		.amdhsa_user_sgpr_dispatch_ptr 0
		.amdhsa_user_sgpr_queue_ptr 0
		.amdhsa_user_sgpr_kernarg_segment_ptr 1
		.amdhsa_user_sgpr_dispatch_id 0
		.amdhsa_user_sgpr_flat_scratch_init 0
		.amdhsa_user_sgpr_kernarg_preload_length 0
		.amdhsa_user_sgpr_kernarg_preload_offset 0
		.amdhsa_user_sgpr_private_segment_size 0
		.amdhsa_uses_dynamic_stack 0
		.amdhsa_system_sgpr_private_segment_wavefront_offset 0
		.amdhsa_system_sgpr_workgroup_id_x 1
		.amdhsa_system_sgpr_workgroup_id_y 1
		.amdhsa_system_sgpr_workgroup_id_z 0
		.amdhsa_system_sgpr_workgroup_info 0
		.amdhsa_system_vgpr_workitem_id 0
		.amdhsa_next_free_vgpr 62
		.amdhsa_next_free_sgpr 32
		.amdhsa_accum_offset 64
		.amdhsa_reserve_vcc 1
		.amdhsa_reserve_flat_scratch 0
		.amdhsa_float_round_mode_32 0
		.amdhsa_float_round_mode_16_64 0
		.amdhsa_float_denorm_mode_32 3
		.amdhsa_float_denorm_mode_16_64 3
		.amdhsa_dx10_clamp 1
		.amdhsa_ieee_mode 1
		.amdhsa_fp16_overflow 0
		.amdhsa_tg_split 0
		.amdhsa_exception_fp_ieee_invalid_op 0
		.amdhsa_exception_fp_denorm_src 0
		.amdhsa_exception_fp_ieee_div_zero 0
		.amdhsa_exception_fp_ieee_overflow 0
		.amdhsa_exception_fp_ieee_underflow 0
		.amdhsa_exception_fp_ieee_inexact 0
		.amdhsa_exception_int_div_zero 0
	.end_amdhsa_kernel
	.section	.text._ZN5aiter23fused_qk_rmsnorm_kernelIDF16_Li256ELi16ELb1ELi2EEEvPT_S2_PKS1_S4_S4_S4_ffiiiiiii,"axG",@progbits,_ZN5aiter23fused_qk_rmsnorm_kernelIDF16_Li256ELi16ELb1ELi2EEEvPT_S2_PKS1_S4_S4_S4_ffiiiiiii,comdat
.Lfunc_end13:
	.size	_ZN5aiter23fused_qk_rmsnorm_kernelIDF16_Li256ELi16ELb1ELi2EEEvPT_S2_PKS1_S4_S4_S4_ffiiiiiii, .Lfunc_end13-_ZN5aiter23fused_qk_rmsnorm_kernelIDF16_Li256ELi16ELb1ELi2EEEvPT_S2_PKS1_S4_S4_S4_ffiiiiiii
                                        ; -- End function
	.section	.AMDGPU.csdata,"",@progbits
; Kernel info:
; codeLenInByte = 1524
; NumSgprs: 36
; NumVgprs: 62
; NumAgprs: 0
; TotalNumVgprs: 62
; ScratchSize: 0
; MemoryBound: 0
; FloatMode: 240
; IeeeMode: 1
; LDSByteSize: 16 bytes/workgroup (compile time only)
; SGPRBlocks: 4
; VGPRBlocks: 7
; NumSGPRsForWavesPerEU: 36
; NumVGPRsForWavesPerEU: 62
; AccumOffset: 64
; Occupancy: 8
; WaveLimiterHint : 0
; COMPUTE_PGM_RSRC2:SCRATCH_EN: 0
; COMPUTE_PGM_RSRC2:USER_SGPR: 6
; COMPUTE_PGM_RSRC2:TRAP_HANDLER: 0
; COMPUTE_PGM_RSRC2:TGID_X_EN: 1
; COMPUTE_PGM_RSRC2:TGID_Y_EN: 1
; COMPUTE_PGM_RSRC2:TGID_Z_EN: 0
; COMPUTE_PGM_RSRC2:TIDIG_COMP_CNT: 0
; COMPUTE_PGM_RSRC3_GFX90A:ACCUM_OFFSET: 15
; COMPUTE_PGM_RSRC3_GFX90A:TG_SPLIT: 0
	.section	.text._ZN5aiter23fused_qk_rmsnorm_kernelItLi256ELi16ELb1ELi2EEEvPT_S2_PKS1_S4_S4_S4_ffiiiiiii,"axG",@progbits,_ZN5aiter23fused_qk_rmsnorm_kernelItLi256ELi16ELb1ELi2EEEvPT_S2_PKS1_S4_S4_S4_ffiiiiiii,comdat
	.protected	_ZN5aiter23fused_qk_rmsnorm_kernelItLi256ELi16ELb1ELi2EEEvPT_S2_PKS1_S4_S4_S4_ffiiiiiii ; -- Begin function _ZN5aiter23fused_qk_rmsnorm_kernelItLi256ELi16ELb1ELi2EEEvPT_S2_PKS1_S4_S4_S4_ffiiiiiii
	.globl	_ZN5aiter23fused_qk_rmsnorm_kernelItLi256ELi16ELb1ELi2EEEvPT_S2_PKS1_S4_S4_S4_ffiiiiiii
	.p2align	8
	.type	_ZN5aiter23fused_qk_rmsnorm_kernelItLi256ELi16ELb1ELi2EEEvPT_S2_PKS1_S4_S4_S4_ffiiiiiii,@function
_ZN5aiter23fused_qk_rmsnorm_kernelItLi256ELi16ELb1ELi2EEEvPT_S2_PKS1_S4_S4_S4_ffiiiiiii: ; @_ZN5aiter23fused_qk_rmsnorm_kernelItLi256ELi16ELb1ELi2EEEvPT_S2_PKS1_S4_S4_S4_ffiiiiiii
; %bb.0:
	s_load_dwordx8 s[8:15], s[4:5], 0x30
	s_mov_b32 s0, s6
	s_mov_b32 s1, 0
	s_lshl_b64 s[16:17], s[0:1], 1
	s_waitcnt lgkmcnt(0)
	s_ashr_i32 s19, s10, 31
	s_mov_b32 s18, s10
	v_pk_mov_b32 v[2:3], s[18:19], s[18:19] op_sel:[0,1]
	v_cmp_ge_i64_e32 vcc, s[16:17], v[2:3]
	s_cbranch_vccnz .LBB14_10
; %bb.1:
	s_load_dwordx8 s[24:31], s[4:5], 0x0
	s_load_dwordx4 s[0:3], s[4:5], 0x20
	s_load_dword s6, s[4:5], 0x50
	s_cmp_eq_u32 s7, 0
	s_cselect_b64 vcc, -1, 0
	s_and_b64 s[4:5], vcc, exec
	v_mov_b32_e32 v2, s8
	s_waitcnt lgkmcnt(0)
	s_cselect_b32 s8, s0, s2
	s_cselect_b32 s2, s13, s14
	s_cselect_b32 s12, s11, s12
	s_cselect_b32 s5, s29, s31
	s_cselect_b32 s4, s28, s30
	s_cselect_b32 s22, s25, s27
	s_cselect_b32 s23, s24, s26
	s_cselect_b32 s7, s1, s3
	s_cselect_b32 s24, s15, s6
	s_ashr_i32 s3, s2, 31
	s_mul_i32 s0, s16, s3
	s_mul_hi_u32 s1, s16, s2
	s_add_i32 s0, s1, s0
	s_mul_i32 s1, s17, s2
	s_add_i32 s1, s0, s1
	s_mul_i32 s0, s16, s2
	s_lshl_b64 s[0:1], s[0:1], 1
	s_add_u32 s4, s4, s0
	s_addc_u32 s13, s5, s1
	s_add_i32 s0, s12, 1
	s_lshr_b32 s1, s0, 31
	v_mov_b32_e32 v1, s9
	s_add_i32 s0, s0, s1
	v_cndmask_b32_e32 v42, v1, v2, vcc
	s_lshl_b32 s0, s0, 1
	v_lshlrev_b32_e32 v2, 5, v0
	s_and_b32 s10, s0, -4
	v_lshlrev_b32_e32 v1, 4, v0
	v_and_b32_e32 v2, 0x7800, v2
	s_movk_i32 s0, 0x3f0
	s_and_b32 s9, s7, 0xffff
	s_mov_b32 s11, 0x20000
	v_and_or_b32 v43, v1, s0, v2
	s_movk_i32 s25, 0x400
	buffer_load_dwordx4 v[2:5], v43, s[8:11], 0 offen
	buffer_load_dwordx4 v[30:33], v43, s[8:11], s25 offen
	s_and_b32 s5, s13, 0xffff
	s_mov_b32 s6, s10
	s_mov_b32 s7, s11
	buffer_load_dwordx4 v[8:11], v43, s[4:7], 0 offen glc slc
	buffer_load_dwordx4 v[12:15], v43, s[4:7], s25 offen glc slc
	v_lshrrev_b32_e32 v16, 4, v0
	v_and_b32_e32 v44, 60, v16
	v_cvt_f32_i32_e32 v46, s12
	s_or_b32 s6, s16, 1
	s_lshl_b64 s[8:9], s[2:3], 1
	s_add_u32 s12, s4, s8
	s_mov_b32 s7, s17
	v_pk_mov_b32 v[6:7], s[18:19], s[18:19] op_sel:[0,1]
	v_and_b32_e32 v1, 63, v0
	v_and_b32_e32 v0, 3, v0
	s_addc_u32 s4, s13, s9
	v_cmp_eq_u32_e64 s[0:1], 63, v1
	v_lshlrev_b32_e32 v45, 2, v0
	v_cmp_lt_u64_e64 s[2:3], s[6:7], v[6:7]
	s_mov_b64 s[14:15], s[10:11]
	s_ashr_i32 s26, s24, 31
	s_and_b32 s13, s4, 0xffff
	s_mov_b64 s[4:5], 0
	s_mov_b64 s[6:7], -1
	s_mov_b32 s27, 0x800000
	s_mov_b32 s28, 0x7060302
	s_waitcnt vmcnt(3)
	v_cvt_f32_u32_sdwa v17, v2 dst_sel:DWORD dst_unused:UNUSED_PAD src0_sel:WORD_1
	v_cvt_f32_u32_sdwa v16, v2 dst_sel:DWORD dst_unused:UNUSED_PAD src0_sel:WORD_0
	v_cvt_f32_u32_sdwa v19, v3 dst_sel:DWORD dst_unused:UNUSED_PAD src0_sel:WORD_1
	v_cvt_f32_u32_sdwa v18, v3 dst_sel:DWORD dst_unused:UNUSED_PAD src0_sel:WORD_0
	v_cvt_f32_u32_sdwa v21, v4 dst_sel:DWORD dst_unused:UNUSED_PAD src0_sel:WORD_1
	v_cvt_f32_u32_sdwa v20, v4 dst_sel:DWORD dst_unused:UNUSED_PAD src0_sel:WORD_0
	v_cvt_f32_u32_sdwa v23, v5 dst_sel:DWORD dst_unused:UNUSED_PAD src0_sel:WORD_1
	v_cvt_f32_u32_sdwa v22, v5 dst_sel:DWORD dst_unused:UNUSED_PAD src0_sel:WORD_0
	s_waitcnt vmcnt(2)
	v_cvt_f32_u32_sdwa v25, v30 dst_sel:DWORD dst_unused:UNUSED_PAD src0_sel:WORD_1
	v_cvt_f32_u32_sdwa v24, v30 dst_sel:DWORD dst_unused:UNUSED_PAD src0_sel:WORD_0
	v_cvt_f32_u32_sdwa v27, v31 dst_sel:DWORD dst_unused:UNUSED_PAD src0_sel:WORD_1
	v_cvt_f32_u32_sdwa v26, v31 dst_sel:DWORD dst_unused:UNUSED_PAD src0_sel:WORD_0
	;; [unrolled: 2-line block ×4, first 2 shown]
	s_branch .LBB14_4
.LBB14_2:                               ;   in Loop: Header=BB14_4 Depth=1
	s_or_b64 exec, exec, s[20:21]
	s_waitcnt lgkmcnt(0)
	s_barrier
	ds_read_b32 v14, v45
	s_mul_i32 s9, s9, s24
	s_waitcnt lgkmcnt(0)
	v_mov_b32_dpp v15, v14 quad_perm:[1,0,3,2] row_mask:0xf bank_mask:0xf
	v_add_f32_e32 v14, v14, v15
	s_nop 1
	v_mov_b32_dpp v15, v14 quad_perm:[2,3,0,1] row_mask:0xf bank_mask:0xf
	v_add_f32_e32 v14, v14, v15
	v_div_scale_f32 v15, s[20:21], v46, v46, v14
	v_rcp_f32_e32 v47, v15
	v_div_scale_f32 v48, vcc, v14, v46, v14
	s_mul_i32 s20, s8, s26
	v_fma_f32 v49, -v15, v47, 1.0
	v_fmac_f32_e32 v47, v49, v47
	v_mul_f32_e32 v49, v48, v47
	v_fma_f32 v50, -v15, v49, v48
	v_fmac_f32_e32 v49, v50, v47
	v_fma_f32 v15, -v15, v49, v48
	v_div_fmas_f32 v15, v15, v47, v49
	v_div_fixup_f32 v14, v15, v46, v14
	v_add_f32_e32 v14, v42, v14
	v_mul_f32_e32 v15, 0x4b800000, v14
	v_cmp_gt_f32_e32 vcc, s27, v14
	v_cndmask_b32_e32 v14, v14, v15, vcc
	v_rsq_f32_e32 v14, v14
	s_mul_hi_u32 s21, s8, s24
	s_add_i32 s20, s21, s20
	s_add_i32 s9, s20, s9
	s_mul_i32 s8, s8, s24
	v_mul_f32_e32 v15, 0x45800000, v14
	s_lshl_b64 s[8:9], s[8:9], 1
	v_cndmask_b32_e32 v14, v14, v15, vcc
	s_add_u32 s8, s23, s8
	v_mov_b32_e32 v15, v14
	;;#ASMSTART
	v_pk_mul_f32 v[32:33], v[32:33], v[14:15]
	;;#ASMEND
	;;#ASMSTART
	v_pk_mul_f32 v[34:35], v[34:35], v[14:15]
	;;#ASMEND
	;;#ASMSTART
	v_pk_mul_f32 v[8:9], v[8:9], v[14:15]
	;;#ASMEND
	;;#ASMSTART
	v_pk_mul_f32 v[36:37], v[36:37], v[14:15]
	;;#ASMEND
	;;#ASMSTART
	v_pk_mul_f32 v[10:11], v[10:11], v[14:15]
	;;#ASMEND
	s_addc_u32 s9, s22, s9
	;;#ASMSTART
	v_pk_mul_f32 v[38:39], v[38:39], v[14:15]
	;;#ASMEND
	;;#ASMSTART
	v_pk_mul_f32 v[12:13], v[12:13], v[14:15]
	;;#ASMEND
	;; [unrolled: 3-line block ×8, first 2 shown]
	s_and_b32 s9, s9, 0xffff
	v_perm_b32 v8, v33, v32, s28
	v_perm_b32 v9, v35, v34, s28
	v_perm_b32 v10, v41, v40, s28
	v_perm_b32 v11, v37, v36, s28
	;;#ASMSTART
	v_pk_mul_f32 v[38:39], v[38:39], v[26:27]
	;;#ASMEND
	;;#ASMSTART
	v_pk_mul_f32 v[12:13], v[12:13], v[28:29]
	;;#ASMEND
	;; [unrolled: 3-line block ×3, first 2 shown]
	buffer_store_dwordx4 v[8:11], v43, s[8:11], 0 offen
	;;#ASMSTART
	s_nop 0
	;;#ASMEND
	s_nop 0
	v_perm_b32 v8, v49, v48, s28
	v_perm_b32 v9, v39, v38, s28
	v_perm_b32 v10, v13, v12, s28
	v_perm_b32 v11, v15, v14, s28
	buffer_store_dwordx4 v[8:11], v43, s[8:11], s25 offen
	;;#ASMSTART
	s_nop 0
	;;#ASMEND
.LBB14_3:                               ;   in Loop: Header=BB14_4 Depth=1
	s_and_b64 s[8:9], s[4:5], s[6:7]
	s_waitcnt vmcnt(2)
	v_pk_mov_b32 v[14:15], v[6:7], v[6:7] op_sel:[0,1]
	s_mov_b64 s[4:5], 1
	s_mov_b64 s[6:7], 0
	s_and_b64 vcc, exec, s[8:9]
	v_pk_mov_b32 v[12:13], v[4:5], v[4:5] op_sel:[0,1]
	v_pk_mov_b32 v[10:11], v[2:3], v[2:3] op_sel:[0,1]
	;; [unrolled: 1-line block ×3, first 2 shown]
	s_cbranch_vccz .LBB14_10
.LBB14_4:                               ; =>This Inner Loop Header: Depth=1
	s_or_b64 s[8:9], s[16:17], s[4:5]
	v_pk_mov_b32 v[0:1], s[18:19], s[18:19] op_sel:[0,1]
	v_cmp_ge_i64_e32 vcc, s[8:9], v[0:1]
	v_cmp_lt_i64_e64 s[4:5], s[8:9], v[0:1]
	s_cbranch_vccnz .LBB14_9
; %bb.5:                                ;   in Loop: Header=BB14_4 Depth=1
	s_and_b64 s[20:21], s[6:7], s[2:3]
	s_waitcnt vmcnt(0)
	v_pk_mov_b32 v[0:1], v[8:9], v[8:9] op_sel:[0,1]
	s_andn2_b64 vcc, exec, s[20:21]
	v_pk_mov_b32 v[2:3], v[10:11], v[10:11] op_sel:[0,1]
	v_pk_mov_b32 v[4:5], v[12:13], v[12:13] op_sel:[0,1]
	;; [unrolled: 1-line block ×3, first 2 shown]
	s_cbranch_vccnz .LBB14_7
; %bb.6:                                ;   in Loop: Header=BB14_4 Depth=1
	buffer_load_dwordx4 v[0:3], v43, s[12:15], 0 offen glc slc
	buffer_load_dwordx4 v[4:7], v43, s[12:15], s25 offen glc slc
.LBB14_7:                               ;   in Loop: Header=BB14_4 Depth=1
	v_and_b32_e32 v33, 0xffff0000, v8
	v_lshlrev_b32_e32 v32, 16, v8
	v_and_b32_e32 v35, 0xffff0000, v9
	v_lshlrev_b32_e32 v34, 16, v9
	;; [unrolled: 2-line block ×8, first 2 shown]
	v_pk_mul_f32 v[14:15], v[32:33], v[32:33]
	v_pk_mul_f32 v[48:49], v[34:35], v[34:35]
	v_add_f32_e32 v14, v14, v15
	v_add_f32_e32 v14, v14, v48
	v_pk_mul_f32 v[50:51], v[8:9], v[8:9]
	v_add_f32_e32 v14, v14, v49
	v_add_f32_e32 v14, v14, v50
	;; [unrolled: 3-line block ×7, first 2 shown]
	v_add_f32_e32 v14, v14, v61
	s_nop 1
	v_mov_b32_dpp v15, v14 quad_perm:[1,0,3,2] row_mask:0xf bank_mask:0xf
	v_add_f32_e32 v14, v14, v15
	s_nop 1
	v_mov_b32_dpp v15, v14 quad_perm:[2,3,0,1] row_mask:0xf bank_mask:0xf
	v_add_f32_e32 v14, v14, v15
	s_nop 1
	v_mov_b32_dpp v15, v14 row_half_mirror row_mask:0xf bank_mask:0xf
	v_add_f32_e32 v14, v14, v15
	s_nop 1
	v_mov_b32_dpp v15, v14 row_mirror row_mask:0xf bank_mask:0xf
	v_add_f32_e32 v14, v14, v15
	s_nop 1
	v_mov_b32_dpp v15, v14 row_bcast:15 row_mask:0xf bank_mask:0xf
	v_add_f32_e32 v14, v14, v15
	s_nop 1
	v_mov_b32_dpp v15, v14 row_bcast:31 row_mask:0xf bank_mask:0xf
	s_and_saveexec_b64 s[20:21], s[0:1]
	s_cbranch_execz .LBB14_2
; %bb.8:                                ;   in Loop: Header=BB14_4 Depth=1
	v_add_f32_e32 v14, v14, v15
	ds_write_b32 v44, v14
	s_branch .LBB14_2
.LBB14_9:                               ;   in Loop: Header=BB14_4 Depth=1
	s_waitcnt vmcnt(0)
	v_pk_mov_b32 v[0:1], v[8:9], v[8:9] op_sel:[0,1]
	v_pk_mov_b32 v[2:3], v[10:11], v[10:11] op_sel:[0,1]
	;; [unrolled: 1-line block ×4, first 2 shown]
	s_branch .LBB14_3
.LBB14_10:
	s_endpgm
	.section	.rodata,"a",@progbits
	.p2align	6, 0x0
	.amdhsa_kernel _ZN5aiter23fused_qk_rmsnorm_kernelItLi256ELi16ELb1ELi2EEEvPT_S2_PKS1_S4_S4_S4_ffiiiiiii
		.amdhsa_group_segment_fixed_size 16
		.amdhsa_private_segment_fixed_size 0
		.amdhsa_kernarg_size 84
		.amdhsa_user_sgpr_count 6
		.amdhsa_user_sgpr_private_segment_buffer 1
		.amdhsa_user_sgpr_dispatch_ptr 0
		.amdhsa_user_sgpr_queue_ptr 0
		.amdhsa_user_sgpr_kernarg_segment_ptr 1
		.amdhsa_user_sgpr_dispatch_id 0
		.amdhsa_user_sgpr_flat_scratch_init 0
		.amdhsa_user_sgpr_kernarg_preload_length 0
		.amdhsa_user_sgpr_kernarg_preload_offset 0
		.amdhsa_user_sgpr_private_segment_size 0
		.amdhsa_uses_dynamic_stack 0
		.amdhsa_system_sgpr_private_segment_wavefront_offset 0
		.amdhsa_system_sgpr_workgroup_id_x 1
		.amdhsa_system_sgpr_workgroup_id_y 1
		.amdhsa_system_sgpr_workgroup_id_z 0
		.amdhsa_system_sgpr_workgroup_info 0
		.amdhsa_system_vgpr_workitem_id 0
		.amdhsa_next_free_vgpr 62
		.amdhsa_next_free_sgpr 32
		.amdhsa_accum_offset 64
		.amdhsa_reserve_vcc 1
		.amdhsa_reserve_flat_scratch 0
		.amdhsa_float_round_mode_32 0
		.amdhsa_float_round_mode_16_64 0
		.amdhsa_float_denorm_mode_32 3
		.amdhsa_float_denorm_mode_16_64 3
		.amdhsa_dx10_clamp 1
		.amdhsa_ieee_mode 1
		.amdhsa_fp16_overflow 0
		.amdhsa_tg_split 0
		.amdhsa_exception_fp_ieee_invalid_op 0
		.amdhsa_exception_fp_denorm_src 0
		.amdhsa_exception_fp_ieee_div_zero 0
		.amdhsa_exception_fp_ieee_overflow 0
		.amdhsa_exception_fp_ieee_underflow 0
		.amdhsa_exception_fp_ieee_inexact 0
		.amdhsa_exception_int_div_zero 0
	.end_amdhsa_kernel
	.section	.text._ZN5aiter23fused_qk_rmsnorm_kernelItLi256ELi16ELb1ELi2EEEvPT_S2_PKS1_S4_S4_S4_ffiiiiiii,"axG",@progbits,_ZN5aiter23fused_qk_rmsnorm_kernelItLi256ELi16ELb1ELi2EEEvPT_S2_PKS1_S4_S4_S4_ffiiiiiii,comdat
.Lfunc_end14:
	.size	_ZN5aiter23fused_qk_rmsnorm_kernelItLi256ELi16ELb1ELi2EEEvPT_S2_PKS1_S4_S4_S4_ffiiiiiii, .Lfunc_end14-_ZN5aiter23fused_qk_rmsnorm_kernelItLi256ELi16ELb1ELi2EEEvPT_S2_PKS1_S4_S4_S4_ffiiiiiii
                                        ; -- End function
	.section	.AMDGPU.csdata,"",@progbits
; Kernel info:
; codeLenInByte = 1504
; NumSgprs: 36
; NumVgprs: 62
; NumAgprs: 0
; TotalNumVgprs: 62
; ScratchSize: 0
; MemoryBound: 0
; FloatMode: 240
; IeeeMode: 1
; LDSByteSize: 16 bytes/workgroup (compile time only)
; SGPRBlocks: 4
; VGPRBlocks: 7
; NumSGPRsForWavesPerEU: 36
; NumVGPRsForWavesPerEU: 62
; AccumOffset: 64
; Occupancy: 8
; WaveLimiterHint : 0
; COMPUTE_PGM_RSRC2:SCRATCH_EN: 0
; COMPUTE_PGM_RSRC2:USER_SGPR: 6
; COMPUTE_PGM_RSRC2:TRAP_HANDLER: 0
; COMPUTE_PGM_RSRC2:TGID_X_EN: 1
; COMPUTE_PGM_RSRC2:TGID_Y_EN: 1
; COMPUTE_PGM_RSRC2:TGID_Z_EN: 0
; COMPUTE_PGM_RSRC2:TIDIG_COMP_CNT: 0
; COMPUTE_PGM_RSRC3_GFX90A:ACCUM_OFFSET: 15
; COMPUTE_PGM_RSRC3_GFX90A:TG_SPLIT: 0
	.section	.text._ZN5aiter23fused_qk_rmsnorm_kernelIDF16_Li256ELi16ELb1ELi1EEEvPT_S2_PKS1_S4_S4_S4_ffiiiiiii,"axG",@progbits,_ZN5aiter23fused_qk_rmsnorm_kernelIDF16_Li256ELi16ELb1ELi1EEEvPT_S2_PKS1_S4_S4_S4_ffiiiiiii,comdat
	.protected	_ZN5aiter23fused_qk_rmsnorm_kernelIDF16_Li256ELi16ELb1ELi1EEEvPT_S2_PKS1_S4_S4_S4_ffiiiiiii ; -- Begin function _ZN5aiter23fused_qk_rmsnorm_kernelIDF16_Li256ELi16ELb1ELi1EEEvPT_S2_PKS1_S4_S4_S4_ffiiiiiii
	.globl	_ZN5aiter23fused_qk_rmsnorm_kernelIDF16_Li256ELi16ELb1ELi1EEEvPT_S2_PKS1_S4_S4_S4_ffiiiiiii
	.p2align	8
	.type	_ZN5aiter23fused_qk_rmsnorm_kernelIDF16_Li256ELi16ELb1ELi1EEEvPT_S2_PKS1_S4_S4_S4_ffiiiiiii,@function
_ZN5aiter23fused_qk_rmsnorm_kernelIDF16_Li256ELi16ELb1ELi1EEEvPT_S2_PKS1_S4_S4_S4_ffiiiiiii: ; @_ZN5aiter23fused_qk_rmsnorm_kernelIDF16_Li256ELi16ELb1ELi1EEEvPT_S2_PKS1_S4_S4_S4_ffiiiiiii
; %bb.0:
	s_load_dwordx8 s[8:15], s[4:5], 0x30
	s_mov_b32 s0, s7
	s_mov_b32 s7, 0
	s_waitcnt lgkmcnt(0)
	s_ashr_i32 s1, s10, 31
	v_mov_b32_e32 v2, s10
	v_mov_b32_e32 v3, s1
	v_cmp_ge_i64_e32 vcc, s[6:7], v[2:3]
	s_cbranch_vccnz .LBB15_4
; %bb.1:
	s_load_dwordx8 s[16:23], s[4:5], 0x0
	s_load_dwordx4 s[24:27], s[4:5], 0x20
	s_load_dword s10, s[4:5], 0x50
	s_cmp_eq_u32 s0, 0
	s_cselect_b64 vcc, -1, 0
	s_and_b64 s[0:1], vcc, exec
	s_cselect_b32 s2, s13, s14
	s_cselect_b32 s11, s11, s12
	s_waitcnt lgkmcnt(0)
	s_cselect_b32 s1, s21, s23
	s_cselect_b32 s4, s20, s22
	;; [unrolled: 1-line block ×4, first 2 shown]
	s_ashr_i32 s3, s2, 31
	s_mul_i32 s3, s3, s6
	s_mul_hi_u32 s7, s2, s6
	s_add_i32 s3, s7, s3
	s_mul_i32 s2, s2, s6
	s_lshl_b64 s[2:3], s[2:3], 1
	s_add_u32 s20, s4, s2
	s_addc_u32 s1, s1, s3
	s_add_i32 s2, s11, 1
	s_lshr_b32 s3, s2, 31
	s_add_i32 s2, s2, s3
	s_lshl_b32 s2, s2, 1
	v_lshlrev_b32_e32 v2, 5, v0
	s_and_b32 s2, s2, -4
	s_mov_b32 s3, 0x20000
	v_lshlrev_b32_e32 v1, 4, v0
	v_and_b32_e32 v2, 0x7800, v2
	s_movk_i32 s4, 0x3f0
	v_and_or_b32 v1, v1, s4, v2
	s_and_b32 s21, s1, 0xffff
	s_mov_b32 s22, s2
	s_mov_b32 s23, s3
	buffer_load_dwordx4 v[10:13], v1, s[20:23], 0 offen glc slc
	s_movk_i32 s7, 0x400
	buffer_load_dwordx4 v[26:29], v1, s[20:23], s7 offen glc slc
	s_and_b32 s1, s5, 0xffff
	buffer_load_dwordx4 v[6:9], v1, s[0:3], 0 offen
	buffer_load_dwordx4 v[2:5], v1, s[0:3], s7 offen
	v_and_b32_e32 v42, 63, v0
	v_cmp_eq_u32_e64 s[0:1], 63, v42
	s_waitcnt vmcnt(3)
	v_cvt_f32_f16_e32 v24, v10
	v_cvt_f32_f16_sdwa v25, v10 dst_sel:DWORD dst_unused:UNUSED_PAD src0_sel:WORD_1
	v_cvt_f32_f16_e32 v22, v11
	v_cvt_f32_f16_sdwa v23, v11 dst_sel:DWORD dst_unused:UNUSED_PAD src0_sel:WORD_1
	;; [unrolled: 2-line block ×3, first 2 shown]
	s_waitcnt vmcnt(2)
	v_cvt_f32_f16_e32 v16, v26
	v_cvt_f32_f16_sdwa v17, v26 dst_sel:DWORD dst_unused:UNUSED_PAD src0_sel:WORD_1
	v_cvt_f32_f16_e32 v14, v27
	v_cvt_f32_f16_sdwa v15, v27 dst_sel:DWORD dst_unused:UNUSED_PAD src0_sel:WORD_1
	v_pk_mul_f32 v[26:27], v[24:25], v[24:25]
	v_cvt_f32_f16_e32 v18, v13
	v_cvt_f32_f16_sdwa v19, v13 dst_sel:DWORD dst_unused:UNUSED_PAD src0_sel:WORD_1
	v_cvt_f32_f16_e32 v12, v28
	v_cvt_f32_f16_sdwa v13, v28 dst_sel:DWORD dst_unused:UNUSED_PAD src0_sel:WORD_1
	;; [unrolled: 2-line block ×3, first 2 shown]
	v_pk_mul_f32 v[28:29], v[22:23], v[22:23]
	v_add_f32_e32 v26, v26, v27
	v_add_f32_e32 v26, v26, v28
	v_pk_mul_f32 v[30:31], v[20:21], v[20:21]
	v_add_f32_e32 v26, v26, v29
	v_add_f32_e32 v26, v26, v30
	;; [unrolled: 3-line block ×7, first 2 shown]
	v_add_f32_e32 v26, v26, v41
	s_nop 1
	v_mov_b32_dpp v27, v26 quad_perm:[1,0,3,2] row_mask:0xf bank_mask:0xf
	v_add_f32_e32 v26, v26, v27
	s_nop 1
	v_mov_b32_dpp v27, v26 quad_perm:[2,3,0,1] row_mask:0xf bank_mask:0xf
	v_add_f32_e32 v26, v26, v27
	s_nop 1
	v_mov_b32_dpp v27, v26 row_half_mirror row_mask:0xf bank_mask:0xf
	v_add_f32_e32 v26, v26, v27
	s_nop 1
	v_mov_b32_dpp v27, v26 row_mirror row_mask:0xf bank_mask:0xf
	v_add_f32_e32 v26, v26, v27
	s_nop 1
	v_mov_b32_dpp v27, v26 row_bcast:15 row_mask:0xf bank_mask:0xf
	v_add_f32_e32 v26, v26, v27
	s_nop 1
	v_mov_b32_dpp v27, v26 row_bcast:31 row_mask:0xf bank_mask:0xf
	s_and_saveexec_b64 s[4:5], s[0:1]
	s_cbranch_execz .LBB15_3
; %bb.2:
	v_add_f32_e32 v26, v26, v27
	v_lshrrev_b32_e32 v27, 4, v0
	v_and_b32_e32 v27, 60, v27
	ds_write_b32 v27, v26
.LBB15_3:
	s_or_b64 exec, exec, s[4:5]
	v_and_b32_e32 v0, 3, v0
	v_lshlrev_b32_e32 v0, 2, v0
	s_waitcnt lgkmcnt(0)
	s_barrier
	ds_read_b32 v0, v0
	v_mov_b32_e32 v29, s9
	v_mov_b32_e32 v30, s8
	v_cndmask_b32_e32 v29, v29, v30, vcc
	s_and_b64 s[0:1], vcc, exec
	s_waitcnt lgkmcnt(0)
	v_mov_b32_dpp v26, v0 quad_perm:[1,0,3,2] row_mask:0xf bank_mask:0xf
	v_add_f32_e32 v0, v0, v26
	v_cvt_f32_i32_e32 v26, s11
	s_cselect_b32 s4, s17, s19
	v_mov_b32_dpp v27, v0 quad_perm:[2,3,0,1] row_mask:0xf bank_mask:0xf
	v_add_f32_e32 v0, v0, v27
	v_div_scale_f32 v27, s[0:1], v26, v26, v0
	v_rcp_f32_e32 v28, v27
	s_mov_b32 s0, 0x800000
	s_cselect_b32 s5, s16, s18
	v_fma_f32 v30, -v27, v28, 1.0
	v_fmac_f32_e32 v28, v30, v28
	v_div_scale_f32 v30, vcc, v0, v26, v0
	v_mul_f32_e32 v31, v30, v28
	v_fma_f32 v32, -v27, v31, v30
	v_fmac_f32_e32 v31, v32, v28
	v_fma_f32 v27, -v27, v31, v30
	v_div_fmas_f32 v27, v27, v28, v31
	v_div_fixup_f32 v0, v27, v26, v0
	v_add_f32_e32 v0, v29, v0
	v_mul_f32_e32 v26, 0x4b800000, v0
	v_cmp_gt_f32_e32 vcc, s0, v0
	v_cndmask_b32_e32 v0, v0, v26, vcc
	v_rsq_f32_e32 v0, v0
	s_cselect_b32 s0, s15, s10
	s_waitcnt vmcnt(1)
	v_cvt_f32_f16_sdwa v29, v7 dst_sel:DWORD dst_unused:UNUSED_PAD src0_sel:WORD_1
	v_cvt_f32_f16_e32 v28, v7
	v_mul_f32_e32 v26, 0x45800000, v0
	v_cndmask_b32_e32 v26, v0, v26, vcc
	v_mov_b32_e32 v27, v26
	;;#ASMSTART
	v_pk_mul_f32 v[24:25], v[24:25], v[26:27]
	;;#ASMEND
	;;#ASMSTART
	v_pk_mul_f32 v[22:23], v[22:23], v[26:27]
	;;#ASMEND
	;; [unrolled: 3-line block ×8, first 2 shown]
	v_cvt_f32_f16_sdwa v27, v6 dst_sel:DWORD dst_unused:UNUSED_PAD src0_sel:WORD_1
	v_cvt_f32_f16_e32 v26, v6
	v_cvt_f32_f16_sdwa v7, v8 dst_sel:DWORD dst_unused:UNUSED_PAD src0_sel:WORD_1
	v_cvt_f32_f16_e32 v6, v8
	s_ashr_i32 s1, s0, 31
	v_cvt_f32_f16_sdwa v31, v9 dst_sel:DWORD dst_unused:UNUSED_PAD src0_sel:WORD_1
	v_cvt_f32_f16_e32 v30, v9
	;;#ASMSTART
	v_pk_mul_f32 v[8:9], v[24:25], v[26:27]
	;;#ASMEND
	;;#ASMSTART
	v_pk_mul_f32 v[22:23], v[22:23], v[28:29]
	;;#ASMEND
	;; [unrolled: 3-line block ×3, first 2 shown]
	s_waitcnt vmcnt(0)
	v_cvt_f32_f16_sdwa v21, v2 dst_sel:DWORD dst_unused:UNUSED_PAD src0_sel:WORD_1
	v_cvt_f32_f16_e32 v20, v2
	v_cvt_f32_f16_sdwa v25, v3 dst_sel:DWORD dst_unused:UNUSED_PAD src0_sel:WORD_1
	v_cvt_f32_f16_e32 v24, v3
	;; [unrolled: 2-line block ×3, first 2 shown]
	s_mul_i32 s1, s1, s6
	s_mul_hi_u32 s8, s0, s6
	;;#ASMSTART
	v_pk_mul_f32 v[18:19], v[18:19], v[30:31]
	;;#ASMEND
	v_cvt_f32_f16_sdwa v27, v5 dst_sel:DWORD dst_unused:UNUSED_PAD src0_sel:WORD_1
	v_cvt_f32_f16_e32 v26, v5
	;;#ASMSTART
	v_pk_mul_f32 v[16:17], v[16:17], v[20:21]
	;;#ASMEND
	;;#ASMSTART
	v_pk_mul_f32 v[14:15], v[14:15], v[24:25]
	;;#ASMEND
	;; [unrolled: 3-line block ×3, first 2 shown]
	s_add_i32 s1, s8, s1
	s_mul_i32 s0, s0, s6
	v_cvt_f16_f32_e32 v0, v8
	v_cvt_f16_f32_e32 v2, v9
	;; [unrolled: 1-line block ×8, first 2 shown]
	s_lshl_b64 s[0:1], s[0:1], 1
	s_add_u32 s0, s5, s0
	s_addc_u32 s1, s4, s1
	s_and_b32 s1, s1, 0xffff
	v_pack_b32_f16 v2, v0, v2
	v_pack_b32_f16 v3, v3, v4
	;; [unrolled: 1-line block ×4, first 2 shown]
	;;#ASMSTART
	v_pk_mul_f32 v[10:11], v[10:11], v[26:27]
	;;#ASMEND
	buffer_store_dwordx4 v[2:5], v1, s[0:3], 0 offen
	v_cvt_f16_f32_e32 v0, v16
	v_cvt_f16_f32_e32 v2, v17
	;; [unrolled: 1-line block ×8, first 2 shown]
	v_pack_b32_f16 v2, v0, v2
	v_pack_b32_f16 v3, v3, v4
	;; [unrolled: 1-line block ×4, first 2 shown]
	;;#ASMSTART
	s_nop 0
	;;#ASMEND
	buffer_store_dwordx4 v[2:5], v1, s[0:3], s7 offen
	;;#ASMSTART
	s_nop 0
	;;#ASMEND
.LBB15_4:
	s_endpgm
	.section	.rodata,"a",@progbits
	.p2align	6, 0x0
	.amdhsa_kernel _ZN5aiter23fused_qk_rmsnorm_kernelIDF16_Li256ELi16ELb1ELi1EEEvPT_S2_PKS1_S4_S4_S4_ffiiiiiii
		.amdhsa_group_segment_fixed_size 16
		.amdhsa_private_segment_fixed_size 0
		.amdhsa_kernarg_size 84
		.amdhsa_user_sgpr_count 6
		.amdhsa_user_sgpr_private_segment_buffer 1
		.amdhsa_user_sgpr_dispatch_ptr 0
		.amdhsa_user_sgpr_queue_ptr 0
		.amdhsa_user_sgpr_kernarg_segment_ptr 1
		.amdhsa_user_sgpr_dispatch_id 0
		.amdhsa_user_sgpr_flat_scratch_init 0
		.amdhsa_user_sgpr_kernarg_preload_length 0
		.amdhsa_user_sgpr_kernarg_preload_offset 0
		.amdhsa_user_sgpr_private_segment_size 0
		.amdhsa_uses_dynamic_stack 0
		.amdhsa_system_sgpr_private_segment_wavefront_offset 0
		.amdhsa_system_sgpr_workgroup_id_x 1
		.amdhsa_system_sgpr_workgroup_id_y 1
		.amdhsa_system_sgpr_workgroup_id_z 0
		.amdhsa_system_sgpr_workgroup_info 0
		.amdhsa_system_vgpr_workitem_id 0
		.amdhsa_next_free_vgpr 43
		.amdhsa_next_free_sgpr 28
		.amdhsa_accum_offset 44
		.amdhsa_reserve_vcc 1
		.amdhsa_reserve_flat_scratch 0
		.amdhsa_float_round_mode_32 0
		.amdhsa_float_round_mode_16_64 0
		.amdhsa_float_denorm_mode_32 3
		.amdhsa_float_denorm_mode_16_64 3
		.amdhsa_dx10_clamp 1
		.amdhsa_ieee_mode 1
		.amdhsa_fp16_overflow 0
		.amdhsa_tg_split 0
		.amdhsa_exception_fp_ieee_invalid_op 0
		.amdhsa_exception_fp_denorm_src 0
		.amdhsa_exception_fp_ieee_div_zero 0
		.amdhsa_exception_fp_ieee_overflow 0
		.amdhsa_exception_fp_ieee_underflow 0
		.amdhsa_exception_fp_ieee_inexact 0
		.amdhsa_exception_int_div_zero 0
	.end_amdhsa_kernel
	.section	.text._ZN5aiter23fused_qk_rmsnorm_kernelIDF16_Li256ELi16ELb1ELi1EEEvPT_S2_PKS1_S4_S4_S4_ffiiiiiii,"axG",@progbits,_ZN5aiter23fused_qk_rmsnorm_kernelIDF16_Li256ELi16ELb1ELi1EEEvPT_S2_PKS1_S4_S4_S4_ffiiiiiii,comdat
.Lfunc_end15:
	.size	_ZN5aiter23fused_qk_rmsnorm_kernelIDF16_Li256ELi16ELb1ELi1EEEvPT_S2_PKS1_S4_S4_S4_ffiiiiiii, .Lfunc_end15-_ZN5aiter23fused_qk_rmsnorm_kernelIDF16_Li256ELi16ELb1ELi1EEEvPT_S2_PKS1_S4_S4_S4_ffiiiiiii
                                        ; -- End function
	.section	.AMDGPU.csdata,"",@progbits
; Kernel info:
; codeLenInByte = 1256
; NumSgprs: 32
; NumVgprs: 43
; NumAgprs: 0
; TotalNumVgprs: 43
; ScratchSize: 0
; MemoryBound: 0
; FloatMode: 240
; IeeeMode: 1
; LDSByteSize: 16 bytes/workgroup (compile time only)
; SGPRBlocks: 3
; VGPRBlocks: 5
; NumSGPRsForWavesPerEU: 32
; NumVGPRsForWavesPerEU: 43
; AccumOffset: 44
; Occupancy: 8
; WaveLimiterHint : 0
; COMPUTE_PGM_RSRC2:SCRATCH_EN: 0
; COMPUTE_PGM_RSRC2:USER_SGPR: 6
; COMPUTE_PGM_RSRC2:TRAP_HANDLER: 0
; COMPUTE_PGM_RSRC2:TGID_X_EN: 1
; COMPUTE_PGM_RSRC2:TGID_Y_EN: 1
; COMPUTE_PGM_RSRC2:TGID_Z_EN: 0
; COMPUTE_PGM_RSRC2:TIDIG_COMP_CNT: 0
; COMPUTE_PGM_RSRC3_GFX90A:ACCUM_OFFSET: 10
; COMPUTE_PGM_RSRC3_GFX90A:TG_SPLIT: 0
	.section	.text._ZN5aiter23fused_qk_rmsnorm_kernelItLi256ELi16ELb1ELi1EEEvPT_S2_PKS1_S4_S4_S4_ffiiiiiii,"axG",@progbits,_ZN5aiter23fused_qk_rmsnorm_kernelItLi256ELi16ELb1ELi1EEEvPT_S2_PKS1_S4_S4_S4_ffiiiiiii,comdat
	.protected	_ZN5aiter23fused_qk_rmsnorm_kernelItLi256ELi16ELb1ELi1EEEvPT_S2_PKS1_S4_S4_S4_ffiiiiiii ; -- Begin function _ZN5aiter23fused_qk_rmsnorm_kernelItLi256ELi16ELb1ELi1EEEvPT_S2_PKS1_S4_S4_S4_ffiiiiiii
	.globl	_ZN5aiter23fused_qk_rmsnorm_kernelItLi256ELi16ELb1ELi1EEEvPT_S2_PKS1_S4_S4_S4_ffiiiiiii
	.p2align	8
	.type	_ZN5aiter23fused_qk_rmsnorm_kernelItLi256ELi16ELb1ELi1EEEvPT_S2_PKS1_S4_S4_S4_ffiiiiiii,@function
_ZN5aiter23fused_qk_rmsnorm_kernelItLi256ELi16ELb1ELi1EEEvPT_S2_PKS1_S4_S4_S4_ffiiiiiii: ; @_ZN5aiter23fused_qk_rmsnorm_kernelItLi256ELi16ELb1ELi1EEEvPT_S2_PKS1_S4_S4_S4_ffiiiiiii
; %bb.0:
	s_load_dwordx8 s[8:15], s[4:5], 0x30
	s_mov_b32 s0, s7
	s_mov_b32 s7, 0
	s_waitcnt lgkmcnt(0)
	s_ashr_i32 s1, s10, 31
	v_mov_b32_e32 v2, s10
	v_mov_b32_e32 v3, s1
	v_cmp_ge_i64_e32 vcc, s[6:7], v[2:3]
	s_cbranch_vccnz .LBB16_4
; %bb.1:
	s_load_dwordx8 s[16:23], s[4:5], 0x0
	s_load_dwordx4 s[24:27], s[4:5], 0x20
	s_load_dword s10, s[4:5], 0x50
	s_cmp_eq_u32 s0, 0
	s_cselect_b64 vcc, -1, 0
	s_and_b64 s[0:1], vcc, exec
	s_cselect_b32 s2, s13, s14
	s_cselect_b32 s11, s11, s12
	s_waitcnt lgkmcnt(0)
	s_cselect_b32 s1, s21, s23
	s_cselect_b32 s4, s20, s22
	;; [unrolled: 1-line block ×4, first 2 shown]
	s_ashr_i32 s3, s2, 31
	s_mul_i32 s3, s3, s6
	s_mul_hi_u32 s7, s2, s6
	s_add_i32 s3, s7, s3
	s_mul_i32 s2, s2, s6
	s_lshl_b64 s[2:3], s[2:3], 1
	s_add_u32 s20, s4, s2
	s_addc_u32 s1, s1, s3
	s_add_i32 s2, s11, 1
	s_lshr_b32 s3, s2, 31
	s_add_i32 s2, s2, s3
	s_lshl_b32 s2, s2, 1
	v_lshlrev_b32_e32 v2, 5, v0
	s_and_b32 s2, s2, -4
	s_mov_b32 s3, 0x20000
	v_lshlrev_b32_e32 v1, 4, v0
	v_and_b32_e32 v2, 0x7800, v2
	s_movk_i32 s4, 0x3f0
	v_and_or_b32 v1, v1, s4, v2
	s_and_b32 s21, s1, 0xffff
	s_mov_b32 s22, s2
	s_mov_b32 s23, s3
	buffer_load_dwordx4 v[10:13], v1, s[20:23], 0 offen glc slc
	s_movk_i32 s7, 0x400
	buffer_load_dwordx4 v[26:29], v1, s[20:23], s7 offen glc slc
	s_and_b32 s1, s5, 0xffff
	buffer_load_dwordx4 v[6:9], v1, s[0:3], 0 offen
	buffer_load_dwordx4 v[2:5], v1, s[0:3], s7 offen
	v_and_b32_e32 v42, 63, v0
	v_cmp_eq_u32_e64 s[0:1], 63, v42
	s_waitcnt vmcnt(3)
	v_and_b32_e32 v25, 0xffff0000, v10
	v_lshlrev_b32_e32 v24, 16, v10
	v_and_b32_e32 v23, 0xffff0000, v11
	v_lshlrev_b32_e32 v22, 16, v11
	s_waitcnt vmcnt(2)
	v_and_b32_e32 v17, 0xffff0000, v26
	v_lshlrev_b32_e32 v16, 16, v26
	v_and_b32_e32 v15, 0xffff0000, v27
	v_lshlrev_b32_e32 v14, 16, v27
	v_pk_mul_f32 v[26:27], v[24:25], v[24:25]
	v_and_b32_e32 v21, 0xffff0000, v12
	v_lshlrev_b32_e32 v20, 16, v12
	v_and_b32_e32 v19, 0xffff0000, v13
	v_lshlrev_b32_e32 v18, 16, v13
	;; [unrolled: 2-line block ×4, first 2 shown]
	v_pk_mul_f32 v[28:29], v[22:23], v[22:23]
	v_add_f32_e32 v26, v26, v27
	v_add_f32_e32 v26, v26, v28
	v_pk_mul_f32 v[30:31], v[20:21], v[20:21]
	v_add_f32_e32 v26, v26, v29
	v_add_f32_e32 v26, v26, v30
	;; [unrolled: 3-line block ×7, first 2 shown]
	v_add_f32_e32 v26, v26, v41
	s_nop 1
	v_mov_b32_dpp v27, v26 quad_perm:[1,0,3,2] row_mask:0xf bank_mask:0xf
	v_add_f32_e32 v26, v26, v27
	s_nop 1
	v_mov_b32_dpp v27, v26 quad_perm:[2,3,0,1] row_mask:0xf bank_mask:0xf
	v_add_f32_e32 v26, v26, v27
	s_nop 1
	v_mov_b32_dpp v27, v26 row_half_mirror row_mask:0xf bank_mask:0xf
	v_add_f32_e32 v26, v26, v27
	s_nop 1
	v_mov_b32_dpp v27, v26 row_mirror row_mask:0xf bank_mask:0xf
	v_add_f32_e32 v26, v26, v27
	s_nop 1
	v_mov_b32_dpp v27, v26 row_bcast:15 row_mask:0xf bank_mask:0xf
	v_add_f32_e32 v26, v26, v27
	s_nop 1
	v_mov_b32_dpp v27, v26 row_bcast:31 row_mask:0xf bank_mask:0xf
	s_and_saveexec_b64 s[4:5], s[0:1]
	s_cbranch_execz .LBB16_3
; %bb.2:
	v_add_f32_e32 v26, v26, v27
	v_lshrrev_b32_e32 v27, 4, v0
	v_and_b32_e32 v27, 60, v27
	ds_write_b32 v27, v26
.LBB16_3:
	s_or_b64 exec, exec, s[4:5]
	v_and_b32_e32 v0, 3, v0
	v_lshlrev_b32_e32 v0, 2, v0
	s_waitcnt lgkmcnt(0)
	s_barrier
	ds_read_b32 v0, v0
	v_mov_b32_e32 v29, s9
	v_mov_b32_e32 v30, s8
	v_cndmask_b32_e32 v29, v29, v30, vcc
	s_and_b64 s[0:1], vcc, exec
	s_waitcnt lgkmcnt(0)
	v_mov_b32_dpp v26, v0 quad_perm:[1,0,3,2] row_mask:0xf bank_mask:0xf
	v_add_f32_e32 v0, v0, v26
	v_cvt_f32_i32_e32 v26, s11
	s_cselect_b32 s4, s17, s19
	v_mov_b32_dpp v27, v0 quad_perm:[2,3,0,1] row_mask:0xf bank_mask:0xf
	v_add_f32_e32 v0, v0, v27
	v_div_scale_f32 v27, s[0:1], v26, v26, v0
	v_rcp_f32_e32 v28, v27
	s_mov_b32 s0, 0x800000
	s_cselect_b32 s5, s16, s18
	v_fma_f32 v30, -v27, v28, 1.0
	v_fmac_f32_e32 v28, v30, v28
	v_div_scale_f32 v30, vcc, v0, v26, v0
	v_mul_f32_e32 v31, v30, v28
	v_fma_f32 v32, -v27, v31, v30
	v_fmac_f32_e32 v31, v32, v28
	v_fma_f32 v27, -v27, v31, v30
	v_div_fmas_f32 v27, v27, v28, v31
	v_div_fixup_f32 v0, v27, v26, v0
	v_add_f32_e32 v0, v29, v0
	v_mul_f32_e32 v26, 0x4b800000, v0
	v_cmp_gt_f32_e32 vcc, s0, v0
	v_cndmask_b32_e32 v0, v0, v26, vcc
	v_rsq_f32_e32 v0, v0
	s_cselect_b32 s0, s15, s10
	s_ashr_i32 s1, s0, 31
	s_mul_i32 s1, s1, s6
	v_mul_f32_e32 v26, 0x45800000, v0
	s_mul_hi_u32 s8, s0, s6
	v_cndmask_b32_e32 v26, v0, v26, vcc
	s_add_i32 s1, s8, s1
	s_mul_i32 s0, s0, s6
	v_mov_b32_e32 v27, v26
	s_lshl_b64 s[0:1], s[0:1], 1
	;;#ASMSTART
	v_pk_mul_f32 v[24:25], v[24:25], v[26:27]
	;;#ASMEND
	;;#ASMSTART
	v_pk_mul_f32 v[22:23], v[22:23], v[26:27]
	;;#ASMEND
	;;#ASMSTART
	v_pk_mul_f32 v[20:21], v[20:21], v[26:27]
	;;#ASMEND
	;;#ASMSTART
	v_pk_mul_f32 v[18:19], v[18:19], v[26:27]
	;;#ASMEND
	;;#ASMSTART
	v_pk_mul_f32 v[16:17], v[16:17], v[26:27]
	;;#ASMEND
	;;#ASMSTART
	v_pk_mul_f32 v[14:15], v[14:15], v[26:27]
	;;#ASMEND
	;;#ASMSTART
	v_pk_mul_f32 v[12:13], v[12:13], v[26:27]
	;;#ASMEND
	;;#ASMSTART
	v_pk_mul_f32 v[10:11], v[10:11], v[26:27]
	;;#ASMEND
	s_waitcnt vmcnt(1)
	v_cvt_f32_u32_sdwa v27, v6 dst_sel:DWORD dst_unused:UNUSED_PAD src0_sel:WORD_1
	v_cvt_f32_u32_sdwa v26, v6 dst_sel:DWORD dst_unused:UNUSED_PAD src0_sel:WORD_0
	v_cvt_f32_u32_sdwa v29, v7 dst_sel:DWORD dst_unused:UNUSED_PAD src0_sel:WORD_1
	v_cvt_f32_u32_sdwa v28, v7 dst_sel:DWORD dst_unused:UNUSED_PAD src0_sel:WORD_0
	;; [unrolled: 2-line block ×3, first 2 shown]
	s_add_u32 s0, s5, s0
	v_cvt_f32_u32_sdwa v31, v9 dst_sel:DWORD dst_unused:UNUSED_PAD src0_sel:WORD_1
	v_cvt_f32_u32_sdwa v30, v9 dst_sel:DWORD dst_unused:UNUSED_PAD src0_sel:WORD_0
	;;#ASMSTART
	v_pk_mul_f32 v[8:9], v[24:25], v[26:27]
	;;#ASMEND
	;;#ASMSTART
	v_pk_mul_f32 v[22:23], v[22:23], v[28:29]
	;;#ASMEND
	;; [unrolled: 3-line block ×3, first 2 shown]
	s_waitcnt vmcnt(0)
	v_cvt_f32_u32_sdwa v21, v2 dst_sel:DWORD dst_unused:UNUSED_PAD src0_sel:WORD_1
	v_cvt_f32_u32_sdwa v20, v2 dst_sel:DWORD dst_unused:UNUSED_PAD src0_sel:WORD_0
	v_cvt_f32_u32_sdwa v25, v3 dst_sel:DWORD dst_unused:UNUSED_PAD src0_sel:WORD_1
	v_cvt_f32_u32_sdwa v24, v3 dst_sel:DWORD dst_unused:UNUSED_PAD src0_sel:WORD_0
	v_cvt_f32_u32_sdwa v3, v4 dst_sel:DWORD dst_unused:UNUSED_PAD src0_sel:WORD_1
	v_cvt_f32_u32_sdwa v2, v4 dst_sel:DWORD dst_unused:UNUSED_PAD src0_sel:WORD_0
	s_addc_u32 s1, s4, s1
	s_mov_b32 s4, 0x7060302
	;;#ASMSTART
	v_pk_mul_f32 v[18:19], v[18:19], v[30:31]
	;;#ASMEND
	v_cvt_f32_u32_sdwa v27, v5 dst_sel:DWORD dst_unused:UNUSED_PAD src0_sel:WORD_1
	v_cvt_f32_u32_sdwa v26, v5 dst_sel:DWORD dst_unused:UNUSED_PAD src0_sel:WORD_0
	;;#ASMSTART
	v_pk_mul_f32 v[16:17], v[16:17], v[20:21]
	;;#ASMEND
	;;#ASMSTART
	v_pk_mul_f32 v[14:15], v[14:15], v[24:25]
	;;#ASMEND
	;; [unrolled: 3-line block ×3, first 2 shown]
	s_and_b32 s1, s1, 0xffff
	v_perm_b32 v2, v9, v8, s4
	v_perm_b32 v3, v23, v22, s4
	;; [unrolled: 1-line block ×4, first 2 shown]
	;;#ASMSTART
	v_pk_mul_f32 v[10:11], v[10:11], v[26:27]
	;;#ASMEND
	buffer_store_dwordx4 v[2:5], v1, s[0:3], 0 offen
	;;#ASMSTART
	s_nop 0
	;;#ASMEND
	s_nop 0
	v_perm_b32 v2, v17, v16, s4
	v_perm_b32 v3, v15, v14, s4
	;; [unrolled: 1-line block ×4, first 2 shown]
	buffer_store_dwordx4 v[2:5], v1, s[0:3], s7 offen
	;;#ASMSTART
	s_nop 0
	;;#ASMEND
.LBB16_4:
	s_endpgm
	.section	.rodata,"a",@progbits
	.p2align	6, 0x0
	.amdhsa_kernel _ZN5aiter23fused_qk_rmsnorm_kernelItLi256ELi16ELb1ELi1EEEvPT_S2_PKS1_S4_S4_S4_ffiiiiiii
		.amdhsa_group_segment_fixed_size 16
		.amdhsa_private_segment_fixed_size 0
		.amdhsa_kernarg_size 84
		.amdhsa_user_sgpr_count 6
		.amdhsa_user_sgpr_private_segment_buffer 1
		.amdhsa_user_sgpr_dispatch_ptr 0
		.amdhsa_user_sgpr_queue_ptr 0
		.amdhsa_user_sgpr_kernarg_segment_ptr 1
		.amdhsa_user_sgpr_dispatch_id 0
		.amdhsa_user_sgpr_flat_scratch_init 0
		.amdhsa_user_sgpr_kernarg_preload_length 0
		.amdhsa_user_sgpr_kernarg_preload_offset 0
		.amdhsa_user_sgpr_private_segment_size 0
		.amdhsa_uses_dynamic_stack 0
		.amdhsa_system_sgpr_private_segment_wavefront_offset 0
		.amdhsa_system_sgpr_workgroup_id_x 1
		.amdhsa_system_sgpr_workgroup_id_y 1
		.amdhsa_system_sgpr_workgroup_id_z 0
		.amdhsa_system_sgpr_workgroup_info 0
		.amdhsa_system_vgpr_workitem_id 0
		.amdhsa_next_free_vgpr 43
		.amdhsa_next_free_sgpr 28
		.amdhsa_accum_offset 44
		.amdhsa_reserve_vcc 1
		.amdhsa_reserve_flat_scratch 0
		.amdhsa_float_round_mode_32 0
		.amdhsa_float_round_mode_16_64 0
		.amdhsa_float_denorm_mode_32 3
		.amdhsa_float_denorm_mode_16_64 3
		.amdhsa_dx10_clamp 1
		.amdhsa_ieee_mode 1
		.amdhsa_fp16_overflow 0
		.amdhsa_tg_split 0
		.amdhsa_exception_fp_ieee_invalid_op 0
		.amdhsa_exception_fp_denorm_src 0
		.amdhsa_exception_fp_ieee_div_zero 0
		.amdhsa_exception_fp_ieee_overflow 0
		.amdhsa_exception_fp_ieee_underflow 0
		.amdhsa_exception_fp_ieee_inexact 0
		.amdhsa_exception_int_div_zero 0
	.end_amdhsa_kernel
	.section	.text._ZN5aiter23fused_qk_rmsnorm_kernelItLi256ELi16ELb1ELi1EEEvPT_S2_PKS1_S4_S4_S4_ffiiiiiii,"axG",@progbits,_ZN5aiter23fused_qk_rmsnorm_kernelItLi256ELi16ELb1ELi1EEEvPT_S2_PKS1_S4_S4_S4_ffiiiiiii,comdat
.Lfunc_end16:
	.size	_ZN5aiter23fused_qk_rmsnorm_kernelItLi256ELi16ELb1ELi1EEEvPT_S2_PKS1_S4_S4_S4_ffiiiiiii, .Lfunc_end16-_ZN5aiter23fused_qk_rmsnorm_kernelItLi256ELi16ELb1ELi1EEEvPT_S2_PKS1_S4_S4_S4_ffiiiiiii
                                        ; -- End function
	.section	.AMDGPU.csdata,"",@progbits
; Kernel info:
; codeLenInByte = 1236
; NumSgprs: 32
; NumVgprs: 43
; NumAgprs: 0
; TotalNumVgprs: 43
; ScratchSize: 0
; MemoryBound: 0
; FloatMode: 240
; IeeeMode: 1
; LDSByteSize: 16 bytes/workgroup (compile time only)
; SGPRBlocks: 3
; VGPRBlocks: 5
; NumSGPRsForWavesPerEU: 32
; NumVGPRsForWavesPerEU: 43
; AccumOffset: 44
; Occupancy: 8
; WaveLimiterHint : 0
; COMPUTE_PGM_RSRC2:SCRATCH_EN: 0
; COMPUTE_PGM_RSRC2:USER_SGPR: 6
; COMPUTE_PGM_RSRC2:TRAP_HANDLER: 0
; COMPUTE_PGM_RSRC2:TGID_X_EN: 1
; COMPUTE_PGM_RSRC2:TGID_Y_EN: 1
; COMPUTE_PGM_RSRC2:TGID_Z_EN: 0
; COMPUTE_PGM_RSRC2:TIDIG_COMP_CNT: 0
; COMPUTE_PGM_RSRC3_GFX90A:ACCUM_OFFSET: 10
; COMPUTE_PGM_RSRC3_GFX90A:TG_SPLIT: 0
	.section	.text._ZN5aiter23fused_qk_rmsnorm_kernelIDF16_Li256ELi24ELb1ELi2EEEvPT_S2_PKS1_S4_S4_S4_ffiiiiiii,"axG",@progbits,_ZN5aiter23fused_qk_rmsnorm_kernelIDF16_Li256ELi24ELb1ELi2EEEvPT_S2_PKS1_S4_S4_S4_ffiiiiiii,comdat
	.protected	_ZN5aiter23fused_qk_rmsnorm_kernelIDF16_Li256ELi24ELb1ELi2EEEvPT_S2_PKS1_S4_S4_S4_ffiiiiiii ; -- Begin function _ZN5aiter23fused_qk_rmsnorm_kernelIDF16_Li256ELi24ELb1ELi2EEEvPT_S2_PKS1_S4_S4_S4_ffiiiiiii
	.globl	_ZN5aiter23fused_qk_rmsnorm_kernelIDF16_Li256ELi24ELb1ELi2EEEvPT_S2_PKS1_S4_S4_S4_ffiiiiiii
	.p2align	8
	.type	_ZN5aiter23fused_qk_rmsnorm_kernelIDF16_Li256ELi24ELb1ELi2EEEvPT_S2_PKS1_S4_S4_S4_ffiiiiiii,@function
_ZN5aiter23fused_qk_rmsnorm_kernelIDF16_Li256ELi24ELb1ELi2EEEvPT_S2_PKS1_S4_S4_S4_ffiiiiiii: ; @_ZN5aiter23fused_qk_rmsnorm_kernelIDF16_Li256ELi24ELb1ELi2EEEvPT_S2_PKS1_S4_S4_S4_ffiiiiiii
; %bb.0:
	s_load_dwordx8 s[8:15], s[4:5], 0x30
	s_mov_b32 s0, s6
	s_mov_b32 s1, 0
	s_lshl_b64 s[16:17], s[0:1], 1
	s_waitcnt lgkmcnt(0)
	s_ashr_i32 s19, s10, 31
	s_mov_b32 s18, s10
	v_pk_mov_b32 v[2:3], s[18:19], s[18:19] op_sel:[0,1]
	v_cmp_ge_i64_e32 vcc, s[16:17], v[2:3]
	s_cbranch_vccnz .LBB17_9
; %bb.1:
	s_load_dwordx8 s[24:31], s[4:5], 0x0
	s_load_dwordx4 s[0:3], s[4:5], 0x20
	s_load_dword s6, s[4:5], 0x50
	s_cmp_eq_u32 s7, 0
	s_cselect_b64 vcc, -1, 0
	s_and_b64 s[4:5], vcc, exec
	v_mov_b32_e32 v2, s8
	s_waitcnt lgkmcnt(0)
	s_cselect_b32 s8, s0, s2
	s_cselect_b32 s2, s13, s14
	;; [unrolled: 1-line block ×9, first 2 shown]
	s_ashr_i32 s3, s2, 31
	s_mul_i32 s0, s16, s3
	s_mul_hi_u32 s1, s16, s2
	s_add_i32 s0, s1, s0
	s_mul_i32 s1, s17, s2
	s_add_i32 s1, s0, s1
	s_mul_i32 s0, s16, s2
	s_lshl_b64 s[0:1], s[0:1], 1
	s_add_u32 s4, s4, s0
	s_addc_u32 s13, s5, s1
	s_add_i32 s0, s12, 1
	s_lshr_b32 s1, s0, 31
	v_mov_b32_e32 v1, s9
	s_add_i32 s0, s0, s1
	v_cndmask_b32_e32 v62, v1, v2, vcc
	s_lshl_b32 s0, s0, 1
	v_and_b32_e32 v2, 0x3c0, v0
	s_and_b32 s10, s0, -4
	v_lshlrev_b32_e32 v1, 3, v0
	v_mul_u32_u24_e32 v2, 24, v2
	s_movk_i32 s0, 0x1f8
	v_and_or_b32 v1, v1, s0, v2
	s_and_b32 s9, s7, 0xffff
	s_mov_b32 s11, 0x20000
	v_lshlrev_b32_e32 v63, 1, v1
	s_movk_i32 s25, 0x400
	s_movk_i32 s26, 0x800
	buffer_load_dwordx4 v[6:9], v63, s[8:11], 0 offen
	buffer_load_dwordx4 v[10:13], v63, s[8:11], s25 offen
	;; [unrolled: 1-line block ×3, first 2 shown]
	s_and_b32 s5, s13, 0xffff
	s_mov_b32 s6, s10
	s_mov_b32 s7, s11
	buffer_load_dwordx4 v[22:25], v63, s[4:7], 0 offen glc slc
	buffer_load_dwordx4 v[14:17], v63, s[4:7], s25 offen glc slc
	;; [unrolled: 1-line block ×3, first 2 shown]
	s_mov_b32 s7, s17
	v_pk_mov_b32 v[26:27], s[18:19], s[18:19] op_sel:[0,1]
	v_and_b32_e32 v1, 63, v0
	v_lshrrev_b32_e32 v28, 4, v0
	v_and_b32_e32 v0, 3, v0
	s_or_b32 s6, s16, 1
	v_cmp_eq_u32_e64 s[0:1], 63, v1
	v_and_b32_e32 v64, 60, v28
	v_lshlrev_b32_e32 v65, 2, v0
	v_cvt_f32_i32_e32 v66, s12
	s_lshl_b64 s[8:9], s[2:3], 1
	v_cmp_lt_u64_e64 s[2:3], s[6:7], v[26:27]
	s_add_u32 s12, s4, s8
	s_addc_u32 s4, s13, s9
	s_mov_b64 s[14:15], s[10:11]
	s_ashr_i32 s27, s24, 31
	s_and_b32 s13, s4, 0xffff
	s_mov_b64 s[4:5], 0
	s_mov_b64 s[6:7], -1
	s_mov_b32 s28, 0x800000
	s_waitcnt vmcnt(5)
	v_cvt_f32_f16_e32 v0, v6
	v_cvt_f32_f16_sdwa v1, v6 dst_sel:DWORD dst_unused:UNUSED_PAD src0_sel:WORD_1
	v_cvt_f32_f16_e32 v26, v7
	v_cvt_f32_f16_sdwa v27, v7 dst_sel:DWORD dst_unused:UNUSED_PAD src0_sel:WORD_1
	v_cvt_f32_f16_e32 v28, v8
	v_cvt_f32_f16_sdwa v29, v8 dst_sel:DWORD dst_unused:UNUSED_PAD src0_sel:WORD_1
	v_cvt_f32_f16_e32 v30, v9
	v_cvt_f32_f16_sdwa v31, v9 dst_sel:DWORD dst_unused:UNUSED_PAD src0_sel:WORD_1
	s_waitcnt vmcnt(4)
	v_cvt_f32_f16_e32 v32, v10
	v_cvt_f32_f16_sdwa v33, v10 dst_sel:DWORD dst_unused:UNUSED_PAD src0_sel:WORD_1
	v_cvt_f32_f16_e32 v34, v11
	v_cvt_f32_f16_sdwa v35, v11 dst_sel:DWORD dst_unused:UNUSED_PAD src0_sel:WORD_1
	v_cvt_f32_f16_e32 v36, v12
	v_cvt_f32_f16_sdwa v37, v12 dst_sel:DWORD dst_unused:UNUSED_PAD src0_sel:WORD_1
	v_cvt_f32_f16_e32 v38, v13
	v_cvt_f32_f16_sdwa v39, v13 dst_sel:DWORD dst_unused:UNUSED_PAD src0_sel:WORD_1
	;; [unrolled: 9-line block ×3, first 2 shown]
	s_branch .LBB17_4
.LBB17_2:                               ;   in Loop: Header=BB17_4 Depth=1
	s_or_b64 exec, exec, s[20:21]
	s_waitcnt lgkmcnt(0)
	s_barrier
	ds_read_b32 v4, v65
	s_mul_i32 s9, s9, s24
	s_waitcnt lgkmcnt(0)
	v_mov_b32_dpp v5, v4 quad_perm:[1,0,3,2] row_mask:0xf bank_mask:0xf
	v_add_f32_e32 v4, v4, v5
	s_nop 1
	v_mov_b32_dpp v5, v4 quad_perm:[2,3,0,1] row_mask:0xf bank_mask:0xf
	v_add_f32_e32 v4, v4, v5
	v_div_scale_f32 v5, s[20:21], v66, v66, v4
	v_rcp_f32_e32 v67, v5
	v_div_scale_f32 v68, vcc, v4, v66, v4
	s_mul_i32 s20, s8, s27
	v_fma_f32 v69, -v5, v67, 1.0
	v_fmac_f32_e32 v67, v69, v67
	v_mul_f32_e32 v69, v68, v67
	v_fma_f32 v70, -v5, v69, v68
	v_fmac_f32_e32 v69, v70, v67
	v_fma_f32 v5, -v5, v69, v68
	v_div_fmas_f32 v5, v5, v67, v69
	v_div_fixup_f32 v4, v5, v66, v4
	v_add_f32_e32 v4, v62, v4
	v_mul_f32_e32 v5, 0x4b800000, v4
	v_cmp_gt_f32_e32 vcc, s28, v4
	v_cndmask_b32_e32 v4, v4, v5, vcc
	v_rsq_f32_e32 v4, v4
	s_mul_hi_u32 s21, s8, s24
	s_add_i32 s20, s21, s20
	s_add_i32 s9, s20, s9
	v_mul_f32_e32 v5, 0x45800000, v4
	v_cndmask_b32_e32 v4, v4, v5, vcc
	v_mov_b32_e32 v5, v4
	;;#ASMSTART
	v_pk_mul_f32 v[48:49], v[48:49], v[4:5]
	;;#ASMEND
	;;#ASMSTART
	v_pk_mul_f32 v[50:51], v[50:51], v[4:5]
	;;#ASMEND
	;; [unrolled: 3-line block ×24, first 2 shown]
	s_mul_i32 s8, s8, s24
	v_cvt_f16_f32_e32 v2, v48
	v_cvt_f16_f32_e32 v3, v49
	;; [unrolled: 1-line block ×8, first 2 shown]
	s_lshl_b64 s[8:9], s[8:9], 1
	s_add_u32 s8, s23, s8
	s_addc_u32 s9, s22, s9
	s_and_b32 s9, s9, 0xffff
	v_pack_b32_f16 v2, v2, v3
	v_pack_b32_f16 v3, v4, v5
	;; [unrolled: 1-line block ×4, first 2 shown]
	buffer_store_dwordx4 v[2:5], v63, s[8:11], 0 offen
	v_cvt_f16_f32_e32 v14, v14
	v_cvt_f16_f32_e32 v2, v24
	;; [unrolled: 1-line block ×8, first 2 shown]
	v_pack_b32_f16 v2, v2, v3
	v_pack_b32_f16 v3, v4, v5
	;; [unrolled: 1-line block ×4, first 2 shown]
	;;#ASMSTART
	s_nop 0
	;;#ASMEND
	buffer_store_dwordx4 v[2:5], v63, s[8:11], s25 offen
	v_cvt_f16_f32_e32 v2, v16
	v_cvt_f16_f32_e32 v3, v17
	v_cvt_f16_f32_e32 v4, v58
	v_cvt_f16_f32_e32 v5, v59
	v_cvt_f16_f32_e32 v14, v60
	v_cvt_f16_f32_e32 v15, v61
	v_cvt_f16_f32_e32 v16, v68
	v_cvt_f16_f32_e32 v17, v69
	v_pack_b32_f16 v2, v2, v3
	v_pack_b32_f16 v3, v4, v5
	;; [unrolled: 1-line block ×4, first 2 shown]
	;;#ASMSTART
	s_nop 0
	;;#ASMEND
	buffer_store_dwordx4 v[2:5], v63, s[8:11], s26 offen
	s_waitcnt vmcnt(3)
	v_mov_b32_e32 v5, v21
	v_mov_b32_e32 v4, v20
	;; [unrolled: 1-line block ×12, first 2 shown]
	;;#ASMSTART
	s_nop 0
	;;#ASMEND
.LBB17_3:                               ;   in Loop: Header=BB17_4 Depth=1
	s_and_b64 s[8:9], s[4:5], s[6:7]
	s_mov_b64 s[4:5], 1
	s_mov_b64 s[6:7], 0
	s_and_b64 vcc, exec, s[8:9]
	s_cbranch_vccz .LBB17_9
.LBB17_4:                               ; =>This Inner Loop Header: Depth=1
	s_or_b64 s[8:9], s[16:17], s[4:5]
	v_pk_mov_b32 v[6:7], s[18:19], s[18:19] op_sel:[0,1]
	v_cmp_ge_i64_e32 vcc, s[8:9], v[6:7]
	v_cmp_lt_i64_e64 s[4:5], s[8:9], v[6:7]
	s_cbranch_vccnz .LBB17_3
; %bb.5:                                ;   in Loop: Header=BB17_4 Depth=1
	s_and_b64 s[20:21], s[6:7], s[2:3]
	s_andn2_b64 vcc, exec, s[20:21]
	s_waitcnt vmcnt(2)
	v_mov_b32_e32 v6, v22
	v_mov_b32_e32 v7, v23
	v_mov_b32_e32 v8, v24
	v_mov_b32_e32 v9, v25
	s_waitcnt vmcnt(1)
	v_mov_b32_e32 v10, v14
	v_mov_b32_e32 v11, v15
	v_mov_b32_e32 v12, v16
	v_mov_b32_e32 v13, v17
	;; [unrolled: 5-line block ×3, first 2 shown]
	s_cbranch_vccnz .LBB17_7
; %bb.6:                                ;   in Loop: Header=BB17_4 Depth=1
	buffer_load_dwordx4 v[6:9], v63, s[12:15], 0 offen glc slc
	buffer_load_dwordx4 v[10:13], v63, s[12:15], s25 offen glc slc
	;; [unrolled: 1-line block ×3, first 2 shown]
.LBB17_7:                               ;   in Loop: Header=BB17_4 Depth=1
	v_cvt_f32_f16_sdwa v49, v22 dst_sel:DWORD dst_unused:UNUSED_PAD src0_sel:WORD_1
	v_cvt_f32_f16_e32 v48, v22
	v_cvt_f32_f16_sdwa v51, v23 dst_sel:DWORD dst_unused:UNUSED_PAD src0_sel:WORD_1
	v_cvt_f32_f16_e32 v50, v23
	;; [unrolled: 2-line block ×12, first 2 shown]
	v_pk_mul_f32 v[4:5], v[48:49], v[48:49]
	v_pk_mul_f32 v[68:69], v[50:51], v[50:51]
	v_add_f32_e32 v4, v4, v5
	v_add_f32_e32 v4, v4, v68
	v_pk_mul_f32 v[70:71], v[22:23], v[22:23]
	v_add_f32_e32 v4, v4, v69
	v_add_f32_e32 v4, v4, v70
	v_pk_mul_f32 v[72:73], v[52:53], v[52:53]
	v_add_f32_e32 v4, v4, v71
	v_add_f32_e32 v4, v4, v72
	v_pk_mul_f32 v[74:75], v[24:25], v[24:25]
	v_add_f32_e32 v4, v4, v73
	v_add_f32_e32 v4, v4, v74
	v_pk_mul_f32 v[76:77], v[54:55], v[54:55]
	v_add_f32_e32 v4, v4, v75
	v_add_f32_e32 v4, v4, v76
	v_pk_mul_f32 v[78:79], v[14:15], v[14:15]
	v_add_f32_e32 v4, v4, v77
	v_add_f32_e32 v4, v4, v78
	v_pk_mul_f32 v[80:81], v[56:57], v[56:57]
	v_add_f32_e32 v4, v4, v79
	v_add_f32_e32 v4, v4, v80
	v_pk_mul_f32 v[82:83], v[16:17], v[16:17]
	v_add_f32_e32 v4, v4, v81
	v_add_f32_e32 v4, v4, v82
	v_pk_mul_f32 v[84:85], v[58:59], v[58:59]
	v_add_f32_e32 v4, v4, v83
	v_add_f32_e32 v4, v4, v84
	v_pk_mul_f32 v[86:87], v[2:3], v[2:3]
	v_add_f32_e32 v4, v4, v85
	v_add_f32_e32 v4, v4, v86
	v_pk_mul_f32 v[88:89], v[60:61], v[60:61]
	v_add_f32_e32 v4, v4, v87
	v_add_f32_e32 v4, v4, v88
	v_add_f32_e32 v4, v4, v89
	s_nop 1
	v_mov_b32_dpp v5, v4 quad_perm:[1,0,3,2] row_mask:0xf bank_mask:0xf
	v_add_f32_e32 v4, v4, v5
	s_nop 1
	v_mov_b32_dpp v5, v4 quad_perm:[2,3,0,1] row_mask:0xf bank_mask:0xf
	v_add_f32_e32 v4, v4, v5
	s_nop 1
	v_mov_b32_dpp v5, v4 row_half_mirror row_mask:0xf bank_mask:0xf
	v_add_f32_e32 v4, v4, v5
	s_nop 1
	v_mov_b32_dpp v5, v4 row_mirror row_mask:0xf bank_mask:0xf
	v_add_f32_e32 v4, v4, v5
	s_nop 1
	v_mov_b32_dpp v5, v4 row_bcast:15 row_mask:0xf bank_mask:0xf
	v_add_f32_e32 v4, v4, v5
	s_nop 1
	v_mov_b32_dpp v5, v4 row_bcast:31 row_mask:0xf bank_mask:0xf
	s_and_saveexec_b64 s[20:21], s[0:1]
	s_cbranch_execz .LBB17_2
; %bb.8:                                ;   in Loop: Header=BB17_4 Depth=1
	v_add_f32_e32 v4, v4, v5
	ds_write_b32 v64, v4
	s_branch .LBB17_2
.LBB17_9:
	s_endpgm
	.section	.rodata,"a",@progbits
	.p2align	6, 0x0
	.amdhsa_kernel _ZN5aiter23fused_qk_rmsnorm_kernelIDF16_Li256ELi24ELb1ELi2EEEvPT_S2_PKS1_S4_S4_S4_ffiiiiiii
		.amdhsa_group_segment_fixed_size 16
		.amdhsa_private_segment_fixed_size 0
		.amdhsa_kernarg_size 84
		.amdhsa_user_sgpr_count 6
		.amdhsa_user_sgpr_private_segment_buffer 1
		.amdhsa_user_sgpr_dispatch_ptr 0
		.amdhsa_user_sgpr_queue_ptr 0
		.amdhsa_user_sgpr_kernarg_segment_ptr 1
		.amdhsa_user_sgpr_dispatch_id 0
		.amdhsa_user_sgpr_flat_scratch_init 0
		.amdhsa_user_sgpr_kernarg_preload_length 0
		.amdhsa_user_sgpr_kernarg_preload_offset 0
		.amdhsa_user_sgpr_private_segment_size 0
		.amdhsa_uses_dynamic_stack 0
		.amdhsa_system_sgpr_private_segment_wavefront_offset 0
		.amdhsa_system_sgpr_workgroup_id_x 1
		.amdhsa_system_sgpr_workgroup_id_y 1
		.amdhsa_system_sgpr_workgroup_id_z 0
		.amdhsa_system_sgpr_workgroup_info 0
		.amdhsa_system_vgpr_workitem_id 0
		.amdhsa_next_free_vgpr 90
		.amdhsa_next_free_sgpr 32
		.amdhsa_accum_offset 92
		.amdhsa_reserve_vcc 1
		.amdhsa_reserve_flat_scratch 0
		.amdhsa_float_round_mode_32 0
		.amdhsa_float_round_mode_16_64 0
		.amdhsa_float_denorm_mode_32 3
		.amdhsa_float_denorm_mode_16_64 3
		.amdhsa_dx10_clamp 1
		.amdhsa_ieee_mode 1
		.amdhsa_fp16_overflow 0
		.amdhsa_tg_split 0
		.amdhsa_exception_fp_ieee_invalid_op 0
		.amdhsa_exception_fp_denorm_src 0
		.amdhsa_exception_fp_ieee_div_zero 0
		.amdhsa_exception_fp_ieee_overflow 0
		.amdhsa_exception_fp_ieee_underflow 0
		.amdhsa_exception_fp_ieee_inexact 0
		.amdhsa_exception_int_div_zero 0
	.end_amdhsa_kernel
	.section	.text._ZN5aiter23fused_qk_rmsnorm_kernelIDF16_Li256ELi24ELb1ELi2EEEvPT_S2_PKS1_S4_S4_S4_ffiiiiiii,"axG",@progbits,_ZN5aiter23fused_qk_rmsnorm_kernelIDF16_Li256ELi24ELb1ELi2EEEvPT_S2_PKS1_S4_S4_S4_ffiiiiiii,comdat
.Lfunc_end17:
	.size	_ZN5aiter23fused_qk_rmsnorm_kernelIDF16_Li256ELi24ELb1ELi2EEEvPT_S2_PKS1_S4_S4_S4_ffiiiiiii, .Lfunc_end17-_ZN5aiter23fused_qk_rmsnorm_kernelIDF16_Li256ELi24ELb1ELi2EEEvPT_S2_PKS1_S4_S4_S4_ffiiiiiii
                                        ; -- End function
	.section	.AMDGPU.csdata,"",@progbits
; Kernel info:
; codeLenInByte = 1864
; NumSgprs: 36
; NumVgprs: 90
; NumAgprs: 0
; TotalNumVgprs: 90
; ScratchSize: 0
; MemoryBound: 0
; FloatMode: 240
; IeeeMode: 1
; LDSByteSize: 16 bytes/workgroup (compile time only)
; SGPRBlocks: 4
; VGPRBlocks: 11
; NumSGPRsForWavesPerEU: 36
; NumVGPRsForWavesPerEU: 90
; AccumOffset: 92
; Occupancy: 5
; WaveLimiterHint : 0
; COMPUTE_PGM_RSRC2:SCRATCH_EN: 0
; COMPUTE_PGM_RSRC2:USER_SGPR: 6
; COMPUTE_PGM_RSRC2:TRAP_HANDLER: 0
; COMPUTE_PGM_RSRC2:TGID_X_EN: 1
; COMPUTE_PGM_RSRC2:TGID_Y_EN: 1
; COMPUTE_PGM_RSRC2:TGID_Z_EN: 0
; COMPUTE_PGM_RSRC2:TIDIG_COMP_CNT: 0
; COMPUTE_PGM_RSRC3_GFX90A:ACCUM_OFFSET: 22
; COMPUTE_PGM_RSRC3_GFX90A:TG_SPLIT: 0
	.section	.text._ZN5aiter23fused_qk_rmsnorm_kernelItLi256ELi24ELb1ELi2EEEvPT_S2_PKS1_S4_S4_S4_ffiiiiiii,"axG",@progbits,_ZN5aiter23fused_qk_rmsnorm_kernelItLi256ELi24ELb1ELi2EEEvPT_S2_PKS1_S4_S4_S4_ffiiiiiii,comdat
	.protected	_ZN5aiter23fused_qk_rmsnorm_kernelItLi256ELi24ELb1ELi2EEEvPT_S2_PKS1_S4_S4_S4_ffiiiiiii ; -- Begin function _ZN5aiter23fused_qk_rmsnorm_kernelItLi256ELi24ELb1ELi2EEEvPT_S2_PKS1_S4_S4_S4_ffiiiiiii
	.globl	_ZN5aiter23fused_qk_rmsnorm_kernelItLi256ELi24ELb1ELi2EEEvPT_S2_PKS1_S4_S4_S4_ffiiiiiii
	.p2align	8
	.type	_ZN5aiter23fused_qk_rmsnorm_kernelItLi256ELi24ELb1ELi2EEEvPT_S2_PKS1_S4_S4_S4_ffiiiiiii,@function
_ZN5aiter23fused_qk_rmsnorm_kernelItLi256ELi24ELb1ELi2EEEvPT_S2_PKS1_S4_S4_S4_ffiiiiiii: ; @_ZN5aiter23fused_qk_rmsnorm_kernelItLi256ELi24ELb1ELi2EEEvPT_S2_PKS1_S4_S4_S4_ffiiiiiii
; %bb.0:
	s_load_dwordx8 s[8:15], s[4:5], 0x30
	s_mov_b32 s0, s6
	s_mov_b32 s1, 0
	s_lshl_b64 s[16:17], s[0:1], 1
	s_waitcnt lgkmcnt(0)
	s_ashr_i32 s19, s10, 31
	s_mov_b32 s18, s10
	v_pk_mov_b32 v[2:3], s[18:19], s[18:19] op_sel:[0,1]
	v_cmp_ge_i64_e32 vcc, s[16:17], v[2:3]
	s_cbranch_vccnz .LBB18_9
; %bb.1:
	s_load_dwordx8 s[24:31], s[4:5], 0x0
	s_load_dwordx4 s[0:3], s[4:5], 0x20
	s_load_dword s6, s[4:5], 0x50
	s_cmp_eq_u32 s7, 0
	s_cselect_b64 vcc, -1, 0
	s_and_b64 s[4:5], vcc, exec
	v_mov_b32_e32 v2, s8
	s_waitcnt lgkmcnt(0)
	s_cselect_b32 s8, s0, s2
	s_cselect_b32 s2, s13, s14
	;; [unrolled: 1-line block ×9, first 2 shown]
	s_ashr_i32 s3, s2, 31
	s_mul_i32 s0, s16, s3
	s_mul_hi_u32 s1, s16, s2
	s_add_i32 s0, s1, s0
	s_mul_i32 s1, s17, s2
	s_add_i32 s1, s0, s1
	s_mul_i32 s0, s16, s2
	s_lshl_b64 s[0:1], s[0:1], 1
	s_add_u32 s4, s4, s0
	s_addc_u32 s13, s5, s1
	s_add_i32 s0, s12, 1
	s_lshr_b32 s1, s0, 31
	v_mov_b32_e32 v1, s9
	s_add_i32 s0, s0, s1
	v_cndmask_b32_e32 v62, v1, v2, vcc
	s_lshl_b32 s0, s0, 1
	v_and_b32_e32 v2, 0x3c0, v0
	s_and_b32 s10, s0, -4
	v_lshlrev_b32_e32 v1, 3, v0
	v_mul_u32_u24_e32 v2, 24, v2
	s_movk_i32 s0, 0x1f8
	v_and_or_b32 v1, v1, s0, v2
	s_and_b32 s9, s7, 0xffff
	s_mov_b32 s11, 0x20000
	v_lshlrev_b32_e32 v63, 1, v1
	s_movk_i32 s25, 0x400
	s_movk_i32 s26, 0x800
	buffer_load_dwordx4 v[10:13], v63, s[8:11], 0 offen
	buffer_load_dwordx4 v[18:21], v63, s[8:11], s25 offen
	;; [unrolled: 1-line block ×3, first 2 shown]
	s_and_b32 s5, s13, 0xffff
	s_mov_b32 s6, s10
	s_mov_b32 s7, s11
	buffer_load_dwordx4 v[14:17], v63, s[4:7], 0 offen glc slc
	buffer_load_dwordx4 v[6:9], v63, s[4:7], s25 offen glc slc
	;; [unrolled: 1-line block ×3, first 2 shown]
	s_mov_b32 s7, s17
	v_pk_mov_b32 v[26:27], s[18:19], s[18:19] op_sel:[0,1]
	v_and_b32_e32 v1, 63, v0
	v_lshrrev_b32_e32 v28, 4, v0
	v_and_b32_e32 v0, 3, v0
	s_or_b32 s6, s16, 1
	v_cmp_eq_u32_e64 s[0:1], 63, v1
	v_and_b32_e32 v64, 60, v28
	v_lshlrev_b32_e32 v65, 2, v0
	v_cvt_f32_i32_e32 v66, s12
	s_lshl_b64 s[8:9], s[2:3], 1
	v_cmp_lt_u64_e64 s[2:3], s[6:7], v[26:27]
	s_add_u32 s12, s4, s8
	s_addc_u32 s4, s13, s9
	s_mov_b64 s[14:15], s[10:11]
	s_ashr_i32 s27, s24, 31
	s_and_b32 s13, s4, 0xffff
	s_mov_b64 s[4:5], 0
	s_mov_b64 s[6:7], -1
	s_mov_b32 s28, 0x800000
	s_mov_b32 s29, 0x7060302
	s_waitcnt vmcnt(5)
	v_cvt_f32_u32_sdwa v1, v10 dst_sel:DWORD dst_unused:UNUSED_PAD src0_sel:WORD_1
	v_cvt_f32_u32_sdwa v0, v10 dst_sel:DWORD dst_unused:UNUSED_PAD src0_sel:WORD_0
	v_cvt_f32_u32_sdwa v27, v11 dst_sel:DWORD dst_unused:UNUSED_PAD src0_sel:WORD_1
	v_cvt_f32_u32_sdwa v26, v11 dst_sel:DWORD dst_unused:UNUSED_PAD src0_sel:WORD_0
	v_cvt_f32_u32_sdwa v29, v12 dst_sel:DWORD dst_unused:UNUSED_PAD src0_sel:WORD_1
	v_cvt_f32_u32_sdwa v28, v12 dst_sel:DWORD dst_unused:UNUSED_PAD src0_sel:WORD_0
	v_cvt_f32_u32_sdwa v31, v13 dst_sel:DWORD dst_unused:UNUSED_PAD src0_sel:WORD_1
	v_cvt_f32_u32_sdwa v30, v13 dst_sel:DWORD dst_unused:UNUSED_PAD src0_sel:WORD_0
	s_waitcnt vmcnt(4)
	v_cvt_f32_u32_sdwa v33, v18 dst_sel:DWORD dst_unused:UNUSED_PAD src0_sel:WORD_1
	v_cvt_f32_u32_sdwa v32, v18 dst_sel:DWORD dst_unused:UNUSED_PAD src0_sel:WORD_0
	v_cvt_f32_u32_sdwa v35, v19 dst_sel:DWORD dst_unused:UNUSED_PAD src0_sel:WORD_1
	v_cvt_f32_u32_sdwa v34, v19 dst_sel:DWORD dst_unused:UNUSED_PAD src0_sel:WORD_0
	v_cvt_f32_u32_sdwa v37, v20 dst_sel:DWORD dst_unused:UNUSED_PAD src0_sel:WORD_1
	v_cvt_f32_u32_sdwa v36, v20 dst_sel:DWORD dst_unused:UNUSED_PAD src0_sel:WORD_0
	v_cvt_f32_u32_sdwa v39, v21 dst_sel:DWORD dst_unused:UNUSED_PAD src0_sel:WORD_1
	v_cvt_f32_u32_sdwa v38, v21 dst_sel:DWORD dst_unused:UNUSED_PAD src0_sel:WORD_0
	;; [unrolled: 9-line block ×3, first 2 shown]
	s_branch .LBB18_4
.LBB18_2:                               ;   in Loop: Header=BB18_4 Depth=1
	s_or_b64 exec, exec, s[20:21]
	s_waitcnt lgkmcnt(0)
	s_barrier
	ds_read_b32 v4, v65
	s_mul_i32 s9, s9, s24
	s_waitcnt lgkmcnt(0)
	v_mov_b32_dpp v5, v4 quad_perm:[1,0,3,2] row_mask:0xf bank_mask:0xf
	v_add_f32_e32 v4, v4, v5
	s_nop 1
	v_mov_b32_dpp v5, v4 quad_perm:[2,3,0,1] row_mask:0xf bank_mask:0xf
	v_add_f32_e32 v4, v4, v5
	v_div_scale_f32 v5, s[20:21], v66, v66, v4
	v_rcp_f32_e32 v67, v5
	v_div_scale_f32 v68, vcc, v4, v66, v4
	s_mul_i32 s20, s8, s27
	v_fma_f32 v69, -v5, v67, 1.0
	v_fmac_f32_e32 v67, v69, v67
	v_mul_f32_e32 v69, v68, v67
	v_fma_f32 v70, -v5, v69, v68
	v_fmac_f32_e32 v69, v70, v67
	v_fma_f32 v5, -v5, v69, v68
	v_div_fmas_f32 v5, v5, v67, v69
	v_div_fixup_f32 v4, v5, v66, v4
	v_add_f32_e32 v4, v62, v4
	v_mul_f32_e32 v5, 0x4b800000, v4
	v_cmp_gt_f32_e32 vcc, s28, v4
	v_cndmask_b32_e32 v4, v4, v5, vcc
	v_rsq_f32_e32 v4, v4
	s_mul_hi_u32 s21, s8, s24
	s_add_i32 s20, s21, s20
	s_add_i32 s9, s20, s9
	v_mul_f32_e32 v5, 0x45800000, v4
	s_mul_i32 s8, s8, s24
	v_cndmask_b32_e32 v4, v4, v5, vcc
	s_lshl_b64 s[8:9], s[8:9], 1
	v_mov_b32_e32 v5, v4
	s_add_u32 s8, s23, s8
	;;#ASMSTART
	v_pk_mul_f32 v[48:49], v[48:49], v[4:5]
	;;#ASMEND
	;;#ASMSTART
	v_pk_mul_f32 v[50:51], v[50:51], v[4:5]
	;;#ASMEND
	;; [unrolled: 3-line block ×12, first 2 shown]
	s_addc_u32 s9, s22, s9
	;;#ASMSTART
	v_pk_mul_f32 v[48:49], v[48:49], v[0:1]
	;;#ASMEND
	;;#ASMSTART
	v_pk_mul_f32 v[50:51], v[50:51], v[26:27]
	;;#ASMEND
	;; [unrolled: 3-line block ×12, first 2 shown]
	s_and_b32 s9, s9, 0xffff
	v_perm_b32 v2, v49, v48, s29
	v_perm_b32 v3, v51, v50, s29
	;; [unrolled: 1-line block ×4, first 2 shown]
	buffer_store_dwordx4 v[2:5], v63, s[8:11], 0 offen
	;;#ASMSTART
	s_nop 0
	;;#ASMEND
	s_waitcnt vmcnt(3)
	v_mov_b32_e32 v15, v11
	v_perm_b32 v2, v17, v16, s29
	v_perm_b32 v3, v55, v54, s29
	;; [unrolled: 1-line block ×4, first 2 shown]
	buffer_store_dwordx4 v[2:5], v63, s[8:11], s25 offen
	v_perm_b32 v2, v9, v8, s29
	v_perm_b32 v3, v59, v58, s29
	;; [unrolled: 1-line block ×4, first 2 shown]
	;;#ASMSTART
	s_nop 0
	;;#ASMEND
	buffer_store_dwordx4 v[2:5], v63, s[8:11], s26 offen
	s_waitcnt vmcnt(3)
	v_mov_b32_e32 v5, v25
	v_mov_b32_e32 v4, v24
	;; [unrolled: 1-line block ×11, first 2 shown]
	;;#ASMSTART
	s_nop 0
	;;#ASMEND
.LBB18_3:                               ;   in Loop: Header=BB18_4 Depth=1
	s_and_b64 s[8:9], s[4:5], s[6:7]
	s_mov_b64 s[4:5], 1
	s_mov_b64 s[6:7], 0
	s_and_b64 vcc, exec, s[8:9]
	s_cbranch_vccz .LBB18_9
.LBB18_4:                               ; =>This Inner Loop Header: Depth=1
	s_or_b64 s[8:9], s[16:17], s[4:5]
	v_pk_mov_b32 v[10:11], s[18:19], s[18:19] op_sel:[0,1]
	v_cmp_ge_i64_e32 vcc, s[8:9], v[10:11]
	v_cmp_lt_i64_e64 s[4:5], s[8:9], v[10:11]
	s_cbranch_vccnz .LBB18_3
; %bb.5:                                ;   in Loop: Header=BB18_4 Depth=1
	s_and_b64 s[20:21], s[6:7], s[2:3]
	s_andn2_b64 vcc, exec, s[20:21]
	s_waitcnt vmcnt(2)
	v_mov_b32_e32 v10, v14
	v_mov_b32_e32 v11, v15
	v_mov_b32_e32 v12, v16
	v_mov_b32_e32 v13, v17
	s_waitcnt vmcnt(1)
	v_mov_b32_e32 v18, v6
	v_mov_b32_e32 v19, v7
	v_mov_b32_e32 v20, v8
	v_mov_b32_e32 v21, v9
	;; [unrolled: 5-line block ×3, first 2 shown]
	s_cbranch_vccnz .LBB18_7
; %bb.6:                                ;   in Loop: Header=BB18_4 Depth=1
	buffer_load_dwordx4 v[10:13], v63, s[12:15], 0 offen glc slc
	buffer_load_dwordx4 v[18:21], v63, s[12:15], s25 offen glc slc
	;; [unrolled: 1-line block ×3, first 2 shown]
.LBB18_7:                               ;   in Loop: Header=BB18_4 Depth=1
	v_and_b32_e32 v49, 0xffff0000, v14
	v_lshlrev_b32_e32 v48, 16, v14
	v_and_b32_e32 v51, 0xffff0000, v15
	v_lshlrev_b32_e32 v50, 16, v15
	;; [unrolled: 2-line block ×12, first 2 shown]
	v_pk_mul_f32 v[4:5], v[48:49], v[48:49]
	v_pk_mul_f32 v[68:69], v[50:51], v[50:51]
	v_add_f32_e32 v4, v4, v5
	v_add_f32_e32 v4, v4, v68
	v_pk_mul_f32 v[70:71], v[14:15], v[14:15]
	v_add_f32_e32 v4, v4, v69
	v_add_f32_e32 v4, v4, v70
	;; [unrolled: 3-line block ×11, first 2 shown]
	v_add_f32_e32 v4, v4, v89
	s_nop 1
	v_mov_b32_dpp v5, v4 quad_perm:[1,0,3,2] row_mask:0xf bank_mask:0xf
	v_add_f32_e32 v4, v4, v5
	s_nop 1
	v_mov_b32_dpp v5, v4 quad_perm:[2,3,0,1] row_mask:0xf bank_mask:0xf
	v_add_f32_e32 v4, v4, v5
	s_nop 1
	v_mov_b32_dpp v5, v4 row_half_mirror row_mask:0xf bank_mask:0xf
	v_add_f32_e32 v4, v4, v5
	s_nop 1
	v_mov_b32_dpp v5, v4 row_mirror row_mask:0xf bank_mask:0xf
	v_add_f32_e32 v4, v4, v5
	s_nop 1
	v_mov_b32_dpp v5, v4 row_bcast:15 row_mask:0xf bank_mask:0xf
	v_add_f32_e32 v4, v4, v5
	s_nop 1
	v_mov_b32_dpp v5, v4 row_bcast:31 row_mask:0xf bank_mask:0xf
	s_and_saveexec_b64 s[20:21], s[0:1]
	s_cbranch_execz .LBB18_2
; %bb.8:                                ;   in Loop: Header=BB18_4 Depth=1
	v_add_f32_e32 v4, v4, v5
	ds_write_b32 v64, v4
	s_branch .LBB18_2
.LBB18_9:
	s_endpgm
	.section	.rodata,"a",@progbits
	.p2align	6, 0x0
	.amdhsa_kernel _ZN5aiter23fused_qk_rmsnorm_kernelItLi256ELi24ELb1ELi2EEEvPT_S2_PKS1_S4_S4_S4_ffiiiiiii
		.amdhsa_group_segment_fixed_size 16
		.amdhsa_private_segment_fixed_size 0
		.amdhsa_kernarg_size 84
		.amdhsa_user_sgpr_count 6
		.amdhsa_user_sgpr_private_segment_buffer 1
		.amdhsa_user_sgpr_dispatch_ptr 0
		.amdhsa_user_sgpr_queue_ptr 0
		.amdhsa_user_sgpr_kernarg_segment_ptr 1
		.amdhsa_user_sgpr_dispatch_id 0
		.amdhsa_user_sgpr_flat_scratch_init 0
		.amdhsa_user_sgpr_kernarg_preload_length 0
		.amdhsa_user_sgpr_kernarg_preload_offset 0
		.amdhsa_user_sgpr_private_segment_size 0
		.amdhsa_uses_dynamic_stack 0
		.amdhsa_system_sgpr_private_segment_wavefront_offset 0
		.amdhsa_system_sgpr_workgroup_id_x 1
		.amdhsa_system_sgpr_workgroup_id_y 1
		.amdhsa_system_sgpr_workgroup_id_z 0
		.amdhsa_system_sgpr_workgroup_info 0
		.amdhsa_system_vgpr_workitem_id 0
		.amdhsa_next_free_vgpr 90
		.amdhsa_next_free_sgpr 32
		.amdhsa_accum_offset 92
		.amdhsa_reserve_vcc 1
		.amdhsa_reserve_flat_scratch 0
		.amdhsa_float_round_mode_32 0
		.amdhsa_float_round_mode_16_64 0
		.amdhsa_float_denorm_mode_32 3
		.amdhsa_float_denorm_mode_16_64 3
		.amdhsa_dx10_clamp 1
		.amdhsa_ieee_mode 1
		.amdhsa_fp16_overflow 0
		.amdhsa_tg_split 0
		.amdhsa_exception_fp_ieee_invalid_op 0
		.amdhsa_exception_fp_denorm_src 0
		.amdhsa_exception_fp_ieee_div_zero 0
		.amdhsa_exception_fp_ieee_overflow 0
		.amdhsa_exception_fp_ieee_underflow 0
		.amdhsa_exception_fp_ieee_inexact 0
		.amdhsa_exception_int_div_zero 0
	.end_amdhsa_kernel
	.section	.text._ZN5aiter23fused_qk_rmsnorm_kernelItLi256ELi24ELb1ELi2EEEvPT_S2_PKS1_S4_S4_S4_ffiiiiiii,"axG",@progbits,_ZN5aiter23fused_qk_rmsnorm_kernelItLi256ELi24ELb1ELi2EEEvPT_S2_PKS1_S4_S4_S4_ffiiiiiii,comdat
.Lfunc_end18:
	.size	_ZN5aiter23fused_qk_rmsnorm_kernelItLi256ELi24ELb1ELi2EEEvPT_S2_PKS1_S4_S4_S4_ffiiiiiii, .Lfunc_end18-_ZN5aiter23fused_qk_rmsnorm_kernelItLi256ELi24ELb1ELi2EEEvPT_S2_PKS1_S4_S4_S4_ffiiiiiii
                                        ; -- End function
	.section	.AMDGPU.csdata,"",@progbits
; Kernel info:
; codeLenInByte = 1828
; NumSgprs: 36
; NumVgprs: 90
; NumAgprs: 0
; TotalNumVgprs: 90
; ScratchSize: 0
; MemoryBound: 0
; FloatMode: 240
; IeeeMode: 1
; LDSByteSize: 16 bytes/workgroup (compile time only)
; SGPRBlocks: 4
; VGPRBlocks: 11
; NumSGPRsForWavesPerEU: 36
; NumVGPRsForWavesPerEU: 90
; AccumOffset: 92
; Occupancy: 5
; WaveLimiterHint : 0
; COMPUTE_PGM_RSRC2:SCRATCH_EN: 0
; COMPUTE_PGM_RSRC2:USER_SGPR: 6
; COMPUTE_PGM_RSRC2:TRAP_HANDLER: 0
; COMPUTE_PGM_RSRC2:TGID_X_EN: 1
; COMPUTE_PGM_RSRC2:TGID_Y_EN: 1
; COMPUTE_PGM_RSRC2:TGID_Z_EN: 0
; COMPUTE_PGM_RSRC2:TIDIG_COMP_CNT: 0
; COMPUTE_PGM_RSRC3_GFX90A:ACCUM_OFFSET: 22
; COMPUTE_PGM_RSRC3_GFX90A:TG_SPLIT: 0
	.section	.text._ZN5aiter23fused_qk_rmsnorm_kernelIDF16_Li256ELi24ELb1ELi1EEEvPT_S2_PKS1_S4_S4_S4_ffiiiiiii,"axG",@progbits,_ZN5aiter23fused_qk_rmsnorm_kernelIDF16_Li256ELi24ELb1ELi1EEEvPT_S2_PKS1_S4_S4_S4_ffiiiiiii,comdat
	.protected	_ZN5aiter23fused_qk_rmsnorm_kernelIDF16_Li256ELi24ELb1ELi1EEEvPT_S2_PKS1_S4_S4_S4_ffiiiiiii ; -- Begin function _ZN5aiter23fused_qk_rmsnorm_kernelIDF16_Li256ELi24ELb1ELi1EEEvPT_S2_PKS1_S4_S4_S4_ffiiiiiii
	.globl	_ZN5aiter23fused_qk_rmsnorm_kernelIDF16_Li256ELi24ELb1ELi1EEEvPT_S2_PKS1_S4_S4_S4_ffiiiiiii
	.p2align	8
	.type	_ZN5aiter23fused_qk_rmsnorm_kernelIDF16_Li256ELi24ELb1ELi1EEEvPT_S2_PKS1_S4_S4_S4_ffiiiiiii,@function
_ZN5aiter23fused_qk_rmsnorm_kernelIDF16_Li256ELi24ELb1ELi1EEEvPT_S2_PKS1_S4_S4_S4_ffiiiiiii: ; @_ZN5aiter23fused_qk_rmsnorm_kernelIDF16_Li256ELi24ELb1ELi1EEEvPT_S2_PKS1_S4_S4_S4_ffiiiiiii
; %bb.0:
	s_load_dwordx8 s[8:15], s[4:5], 0x30
	s_mov_b32 s0, s7
	s_mov_b32 s7, 0
	s_waitcnt lgkmcnt(0)
	s_ashr_i32 s1, s10, 31
	v_mov_b32_e32 v2, s10
	v_mov_b32_e32 v3, s1
	v_cmp_ge_i64_e32 vcc, s[6:7], v[2:3]
	s_cbranch_vccnz .LBB19_4
; %bb.1:
	s_load_dwordx8 s[16:23], s[4:5], 0x0
	s_load_dwordx4 s[28:31], s[4:5], 0x20
	s_load_dword s24, s[4:5], 0x50
	s_cmp_eq_u32 s0, 0
	s_cselect_b64 vcc, -1, 0
	s_and_b64 s[0:1], vcc, exec
	s_cselect_b32 s2, s13, s14
	s_cselect_b32 s11, s11, s12
	s_waitcnt lgkmcnt(0)
	s_cselect_b32 s1, s21, s23
	s_cselect_b32 s4, s20, s22
	;; [unrolled: 1-line block ×4, first 2 shown]
	s_ashr_i32 s3, s2, 31
	s_mul_i32 s3, s3, s6
	s_mul_hi_u32 s7, s2, s6
	s_add_i32 s3, s7, s3
	s_mul_i32 s2, s2, s6
	s_lshl_b64 s[2:3], s[2:3], 1
	s_add_u32 s20, s4, s2
	s_addc_u32 s1, s1, s3
	s_add_i32 s2, s11, 1
	s_lshr_b32 s3, s2, 31
	s_add_i32 s2, s2, s3
	v_and_b32_e32 v2, 0x3c0, v0
	s_lshl_b32 s2, s2, 1
	v_lshlrev_b32_e32 v1, 3, v0
	v_mul_u32_u24_e32 v2, 24, v2
	s_movk_i32 s4, 0x1f8
	s_and_b32 s2, s2, -4
	s_mov_b32 s3, 0x20000
	v_and_or_b32 v1, v1, s4, v2
	s_and_b32 s21, s1, 0xffff
	s_mov_b32 s22, s2
	s_mov_b32 s23, s3
	v_lshlrev_b32_e32 v1, 1, v1
	buffer_load_dwordx4 v[14:17], v1, s[20:23], 0 offen glc slc
	s_movk_i32 s10, 0x400
	s_movk_i32 s7, 0x800
	buffer_load_dwordx4 v[38:41], v1, s[20:23], s7 offen glc slc
	buffer_load_dwordx4 v[18:21], v1, s[20:23], s10 offen glc slc
	s_and_b32 s1, s5, 0xffff
	buffer_load_dwordx4 v[10:13], v1, s[0:3], 0 offen
	buffer_load_dwordx4 v[6:9], v1, s[0:3], s10 offen
	;; [unrolled: 1-line block ×3, first 2 shown]
	v_and_b32_e32 v58, 63, v0
	v_cmp_eq_u32_e64 s[0:1], 63, v58
	s_waitcnt vmcnt(5)
	v_cvt_f32_f16_e32 v36, v14
	v_cvt_f32_f16_sdwa v37, v14 dst_sel:DWORD dst_unused:UNUSED_PAD src0_sel:WORD_1
	v_cvt_f32_f16_e32 v34, v15
	v_cvt_f32_f16_sdwa v35, v15 dst_sel:DWORD dst_unused:UNUSED_PAD src0_sel:WORD_1
	;; [unrolled: 2-line block ×3, first 2 shown]
	s_waitcnt vmcnt(3)
	v_cvt_f32_f16_e32 v28, v18
	v_cvt_f32_f16_sdwa v29, v18 dst_sel:DWORD dst_unused:UNUSED_PAD src0_sel:WORD_1
	v_cvt_f32_f16_e32 v26, v19
	v_cvt_f32_f16_sdwa v27, v19 dst_sel:DWORD dst_unused:UNUSED_PAD src0_sel:WORD_1
	;; [unrolled: 2-line block ×6, first 2 shown]
	v_pk_mul_f32 v[38:39], v[36:37], v[36:37]
	v_cvt_f32_f16_e32 v30, v17
	v_cvt_f32_f16_sdwa v31, v17 dst_sel:DWORD dst_unused:UNUSED_PAD src0_sel:WORD_1
	v_cvt_f32_f16_e32 v16, v40
	v_cvt_f32_f16_sdwa v17, v40 dst_sel:DWORD dst_unused:UNUSED_PAD src0_sel:WORD_1
	;; [unrolled: 2-line block ×3, first 2 shown]
	v_pk_mul_f32 v[40:41], v[34:35], v[34:35]
	v_add_f32_e32 v59, v38, v39
	v_add_f32_e32 v40, v59, v40
	v_pk_mul_f32 v[42:43], v[32:33], v[32:33]
	v_add_f32_e32 v59, v40, v41
	v_add_f32_e32 v42, v59, v42
	;; [unrolled: 3-line block ×11, first 2 shown]
	v_add_f32_e32 v38, v38, v41
	s_nop 1
	v_mov_b32_dpp v39, v38 quad_perm:[1,0,3,2] row_mask:0xf bank_mask:0xf
	v_add_f32_e32 v38, v38, v39
	s_nop 1
	v_mov_b32_dpp v39, v38 quad_perm:[2,3,0,1] row_mask:0xf bank_mask:0xf
	v_add_f32_e32 v38, v38, v39
	s_nop 1
	v_mov_b32_dpp v39, v38 row_half_mirror row_mask:0xf bank_mask:0xf
	v_add_f32_e32 v38, v38, v39
	s_nop 1
	v_mov_b32_dpp v39, v38 row_mirror row_mask:0xf bank_mask:0xf
	v_add_f32_e32 v38, v38, v39
	s_nop 1
	v_mov_b32_dpp v39, v38 row_bcast:15 row_mask:0xf bank_mask:0xf
	v_add_f32_e32 v38, v38, v39
	s_nop 1
	v_mov_b32_dpp v39, v38 row_bcast:31 row_mask:0xf bank_mask:0xf
	s_and_saveexec_b64 s[4:5], s[0:1]
	s_cbranch_execz .LBB19_3
; %bb.2:
	v_add_f32_e32 v38, v38, v39
	v_lshrrev_b32_e32 v39, 4, v0
	v_and_b32_e32 v39, 60, v39
	ds_write_b32 v39, v38
.LBB19_3:
	s_or_b64 exec, exec, s[4:5]
	v_and_b32_e32 v0, 3, v0
	v_lshlrev_b32_e32 v0, 2, v0
	s_waitcnt lgkmcnt(0)
	s_barrier
	ds_read_b32 v0, v0
	v_mov_b32_e32 v41, s9
	v_mov_b32_e32 v42, s8
	v_cndmask_b32_e32 v41, v41, v42, vcc
	s_and_b64 s[0:1], vcc, exec
	s_waitcnt lgkmcnt(0)
	v_mov_b32_dpp v38, v0 quad_perm:[1,0,3,2] row_mask:0xf bank_mask:0xf
	v_add_f32_e32 v0, v0, v38
	v_cvt_f32_i32_e32 v38, s11
	s_cselect_b32 s4, s17, s19
	v_mov_b32_dpp v39, v0 quad_perm:[2,3,0,1] row_mask:0xf bank_mask:0xf
	v_add_f32_e32 v0, v0, v39
	v_div_scale_f32 v39, s[0:1], v38, v38, v0
	v_rcp_f32_e32 v40, v39
	s_mov_b32 s0, 0x800000
	s_cselect_b32 s5, s16, s18
	v_fma_f32 v42, -v39, v40, 1.0
	v_fmac_f32_e32 v40, v42, v40
	v_div_scale_f32 v42, vcc, v0, v38, v0
	v_mul_f32_e32 v43, v42, v40
	v_fma_f32 v44, -v39, v43, v42
	v_fmac_f32_e32 v43, v44, v40
	v_fma_f32 v39, -v39, v43, v42
	v_div_fmas_f32 v39, v39, v40, v43
	v_div_fixup_f32 v0, v39, v38, v0
	v_add_f32_e32 v0, v41, v0
	v_mul_f32_e32 v38, 0x4b800000, v0
	v_cmp_gt_f32_e32 vcc, s0, v0
	v_cndmask_b32_e32 v0, v0, v38, vcc
	v_rsq_f32_e32 v0, v0
	s_cselect_b32 s0, s15, s24
	s_waitcnt vmcnt(2)
	v_cvt_f32_f16_sdwa v41, v11 dst_sel:DWORD dst_unused:UNUSED_PAD src0_sel:WORD_1
	v_cvt_f32_f16_e32 v40, v11
	v_mul_f32_e32 v38, 0x45800000, v0
	v_cndmask_b32_e32 v38, v0, v38, vcc
	v_mov_b32_e32 v39, v38
	;;#ASMSTART
	v_pk_mul_f32 v[36:37], v[36:37], v[38:39]
	;;#ASMEND
	;;#ASMSTART
	v_pk_mul_f32 v[34:35], v[34:35], v[38:39]
	;;#ASMEND
	;; [unrolled: 3-line block ×12, first 2 shown]
	v_cvt_f32_f16_sdwa v39, v10 dst_sel:DWORD dst_unused:UNUSED_PAD src0_sel:WORD_1
	v_cvt_f32_f16_e32 v38, v10
	v_cvt_f32_f16_sdwa v11, v12 dst_sel:DWORD dst_unused:UNUSED_PAD src0_sel:WORD_1
	v_cvt_f32_f16_e32 v10, v12
	;; [unrolled: 2-line block ×3, first 2 shown]
	;;#ASMSTART
	v_pk_mul_f32 v[12:13], v[36:37], v[38:39]
	;;#ASMEND
	;;#ASMSTART
	v_pk_mul_f32 v[34:35], v[34:35], v[40:41]
	;;#ASMEND
	;; [unrolled: 3-line block ×3, first 2 shown]
	s_waitcnt vmcnt(1)
	v_cvt_f32_f16_sdwa v33, v6 dst_sel:DWORD dst_unused:UNUSED_PAD src0_sel:WORD_1
	v_cvt_f32_f16_e32 v32, v6
	v_cvt_f32_f16_sdwa v37, v7 dst_sel:DWORD dst_unused:UNUSED_PAD src0_sel:WORD_1
	v_cvt_f32_f16_e32 v36, v7
	;; [unrolled: 2-line block ×3, first 2 shown]
	s_ashr_i32 s1, s0, 31
	;;#ASMSTART
	v_pk_mul_f32 v[30:31], v[30:31], v[42:43]
	;;#ASMEND
	v_cvt_f32_f16_sdwa v39, v9 dst_sel:DWORD dst_unused:UNUSED_PAD src0_sel:WORD_1
	v_cvt_f32_f16_e32 v38, v9
	;;#ASMSTART
	v_pk_mul_f32 v[8:9], v[28:29], v[32:33]
	;;#ASMEND
	;;#ASMSTART
	v_pk_mul_f32 v[26:27], v[26:27], v[36:37]
	;;#ASMEND
	;; [unrolled: 3-line block ×3, first 2 shown]
	s_waitcnt vmcnt(0)
	v_cvt_f32_f16_sdwa v25, v2 dst_sel:DWORD dst_unused:UNUSED_PAD src0_sel:WORD_1
	v_cvt_f32_f16_e32 v24, v2
	v_cvt_f32_f16_sdwa v29, v3 dst_sel:DWORD dst_unused:UNUSED_PAD src0_sel:WORD_1
	v_cvt_f32_f16_e32 v28, v3
	;; [unrolled: 2-line block ×3, first 2 shown]
	s_mul_i32 s1, s1, s6
	s_mul_hi_u32 s8, s0, s6
	;;#ASMSTART
	v_pk_mul_f32 v[22:23], v[22:23], v[38:39]
	;;#ASMEND
	v_cvt_f32_f16_sdwa v33, v5 dst_sel:DWORD dst_unused:UNUSED_PAD src0_sel:WORD_1
	v_cvt_f32_f16_e32 v32, v5
	;;#ASMSTART
	v_pk_mul_f32 v[20:21], v[20:21], v[24:25]
	;;#ASMEND
	;;#ASMSTART
	v_pk_mul_f32 v[18:19], v[18:19], v[28:29]
	;;#ASMEND
	;; [unrolled: 3-line block ×3, first 2 shown]
	s_add_i32 s1, s8, s1
	s_mul_i32 s0, s0, s6
	v_cvt_f16_f32_e32 v0, v12
	v_cvt_f16_f32_e32 v2, v13
	;; [unrolled: 1-line block ×8, first 2 shown]
	s_lshl_b64 s[0:1], s[0:1], 1
	s_add_u32 s0, s5, s0
	s_addc_u32 s1, s4, s1
	s_and_b32 s1, s1, 0xffff
	v_pack_b32_f16 v2, v0, v2
	v_pack_b32_f16 v3, v3, v4
	;; [unrolled: 1-line block ×4, first 2 shown]
	;;#ASMSTART
	v_pk_mul_f32 v[14:15], v[14:15], v[32:33]
	;;#ASMEND
	buffer_store_dwordx4 v[2:5], v1, s[0:3], 0 offen
	v_cvt_f16_f32_e32 v0, v8
	v_cvt_f16_f32_e32 v2, v9
	v_cvt_f16_f32_e32 v3, v26
	v_cvt_f16_f32_e32 v4, v27
	v_cvt_f16_f32_e32 v5, v6
	v_cvt_f16_f32_e32 v6, v7
	v_cvt_f16_f32_e32 v7, v22
	v_cvt_f16_f32_e32 v8, v23
	v_pack_b32_f16 v2, v0, v2
	v_pack_b32_f16 v3, v3, v4
	;; [unrolled: 1-line block ×4, first 2 shown]
	;;#ASMSTART
	s_nop 0
	;;#ASMEND
	buffer_store_dwordx4 v[2:5], v1, s[0:3], s10 offen
	v_cvt_f16_f32_e32 v0, v20
	v_cvt_f16_f32_e32 v2, v21
	;; [unrolled: 1-line block ×8, first 2 shown]
	v_pack_b32_f16 v2, v0, v2
	v_pack_b32_f16 v3, v3, v4
	;; [unrolled: 1-line block ×4, first 2 shown]
	;;#ASMSTART
	s_nop 0
	;;#ASMEND
	buffer_store_dwordx4 v[2:5], v1, s[0:3], s7 offen
	;;#ASMSTART
	s_nop 0
	;;#ASMEND
.LBB19_4:
	s_endpgm
	.section	.rodata,"a",@progbits
	.p2align	6, 0x0
	.amdhsa_kernel _ZN5aiter23fused_qk_rmsnorm_kernelIDF16_Li256ELi24ELb1ELi1EEEvPT_S2_PKS1_S4_S4_S4_ffiiiiiii
		.amdhsa_group_segment_fixed_size 16
		.amdhsa_private_segment_fixed_size 0
		.amdhsa_kernarg_size 84
		.amdhsa_user_sgpr_count 6
		.amdhsa_user_sgpr_private_segment_buffer 1
		.amdhsa_user_sgpr_dispatch_ptr 0
		.amdhsa_user_sgpr_queue_ptr 0
		.amdhsa_user_sgpr_kernarg_segment_ptr 1
		.amdhsa_user_sgpr_dispatch_id 0
		.amdhsa_user_sgpr_flat_scratch_init 0
		.amdhsa_user_sgpr_kernarg_preload_length 0
		.amdhsa_user_sgpr_kernarg_preload_offset 0
		.amdhsa_user_sgpr_private_segment_size 0
		.amdhsa_uses_dynamic_stack 0
		.amdhsa_system_sgpr_private_segment_wavefront_offset 0
		.amdhsa_system_sgpr_workgroup_id_x 1
		.amdhsa_system_sgpr_workgroup_id_y 1
		.amdhsa_system_sgpr_workgroup_id_z 0
		.amdhsa_system_sgpr_workgroup_info 0
		.amdhsa_system_vgpr_workitem_id 0
		.amdhsa_next_free_vgpr 60
		.amdhsa_next_free_sgpr 32
		.amdhsa_accum_offset 60
		.amdhsa_reserve_vcc 1
		.amdhsa_reserve_flat_scratch 0
		.amdhsa_float_round_mode_32 0
		.amdhsa_float_round_mode_16_64 0
		.amdhsa_float_denorm_mode_32 3
		.amdhsa_float_denorm_mode_16_64 3
		.amdhsa_dx10_clamp 1
		.amdhsa_ieee_mode 1
		.amdhsa_fp16_overflow 0
		.amdhsa_tg_split 0
		.amdhsa_exception_fp_ieee_invalid_op 0
		.amdhsa_exception_fp_denorm_src 0
		.amdhsa_exception_fp_ieee_div_zero 0
		.amdhsa_exception_fp_ieee_overflow 0
		.amdhsa_exception_fp_ieee_underflow 0
		.amdhsa_exception_fp_ieee_inexact 0
		.amdhsa_exception_int_div_zero 0
	.end_amdhsa_kernel
	.section	.text._ZN5aiter23fused_qk_rmsnorm_kernelIDF16_Li256ELi24ELb1ELi1EEEvPT_S2_PKS1_S4_S4_S4_ffiiiiiii,"axG",@progbits,_ZN5aiter23fused_qk_rmsnorm_kernelIDF16_Li256ELi24ELb1ELi1EEEvPT_S2_PKS1_S4_S4_S4_ffiiiiiii,comdat
.Lfunc_end19:
	.size	_ZN5aiter23fused_qk_rmsnorm_kernelIDF16_Li256ELi24ELb1ELi1EEEvPT_S2_PKS1_S4_S4_S4_ffiiiiiii, .Lfunc_end19-_ZN5aiter23fused_qk_rmsnorm_kernelIDF16_Li256ELi24ELb1ELi1EEEvPT_S2_PKS1_S4_S4_S4_ffiiiiiii
                                        ; -- End function
	.section	.AMDGPU.csdata,"",@progbits
; Kernel info:
; codeLenInByte = 1588
; NumSgprs: 36
; NumVgprs: 60
; NumAgprs: 0
; TotalNumVgprs: 60
; ScratchSize: 0
; MemoryBound: 0
; FloatMode: 240
; IeeeMode: 1
; LDSByteSize: 16 bytes/workgroup (compile time only)
; SGPRBlocks: 4
; VGPRBlocks: 7
; NumSGPRsForWavesPerEU: 36
; NumVGPRsForWavesPerEU: 60
; AccumOffset: 60
; Occupancy: 8
; WaveLimiterHint : 0
; COMPUTE_PGM_RSRC2:SCRATCH_EN: 0
; COMPUTE_PGM_RSRC2:USER_SGPR: 6
; COMPUTE_PGM_RSRC2:TRAP_HANDLER: 0
; COMPUTE_PGM_RSRC2:TGID_X_EN: 1
; COMPUTE_PGM_RSRC2:TGID_Y_EN: 1
; COMPUTE_PGM_RSRC2:TGID_Z_EN: 0
; COMPUTE_PGM_RSRC2:TIDIG_COMP_CNT: 0
; COMPUTE_PGM_RSRC3_GFX90A:ACCUM_OFFSET: 14
; COMPUTE_PGM_RSRC3_GFX90A:TG_SPLIT: 0
	.section	.text._ZN5aiter23fused_qk_rmsnorm_kernelItLi256ELi24ELb1ELi1EEEvPT_S2_PKS1_S4_S4_S4_ffiiiiiii,"axG",@progbits,_ZN5aiter23fused_qk_rmsnorm_kernelItLi256ELi24ELb1ELi1EEEvPT_S2_PKS1_S4_S4_S4_ffiiiiiii,comdat
	.protected	_ZN5aiter23fused_qk_rmsnorm_kernelItLi256ELi24ELb1ELi1EEEvPT_S2_PKS1_S4_S4_S4_ffiiiiiii ; -- Begin function _ZN5aiter23fused_qk_rmsnorm_kernelItLi256ELi24ELb1ELi1EEEvPT_S2_PKS1_S4_S4_S4_ffiiiiiii
	.globl	_ZN5aiter23fused_qk_rmsnorm_kernelItLi256ELi24ELb1ELi1EEEvPT_S2_PKS1_S4_S4_S4_ffiiiiiii
	.p2align	8
	.type	_ZN5aiter23fused_qk_rmsnorm_kernelItLi256ELi24ELb1ELi1EEEvPT_S2_PKS1_S4_S4_S4_ffiiiiiii,@function
_ZN5aiter23fused_qk_rmsnorm_kernelItLi256ELi24ELb1ELi1EEEvPT_S2_PKS1_S4_S4_S4_ffiiiiiii: ; @_ZN5aiter23fused_qk_rmsnorm_kernelItLi256ELi24ELb1ELi1EEEvPT_S2_PKS1_S4_S4_S4_ffiiiiiii
; %bb.0:
	s_load_dwordx8 s[8:15], s[4:5], 0x30
	s_mov_b32 s0, s7
	s_mov_b32 s7, 0
	s_waitcnt lgkmcnt(0)
	s_ashr_i32 s1, s10, 31
	v_mov_b32_e32 v2, s10
	v_mov_b32_e32 v3, s1
	v_cmp_ge_i64_e32 vcc, s[6:7], v[2:3]
	s_cbranch_vccnz .LBB20_4
; %bb.1:
	s_load_dwordx8 s[16:23], s[4:5], 0x0
	s_load_dwordx4 s[28:31], s[4:5], 0x20
	s_load_dword s24, s[4:5], 0x50
	s_cmp_eq_u32 s0, 0
	s_cselect_b64 vcc, -1, 0
	s_and_b64 s[0:1], vcc, exec
	s_cselect_b32 s2, s13, s14
	s_cselect_b32 s11, s11, s12
	s_waitcnt lgkmcnt(0)
	s_cselect_b32 s1, s21, s23
	s_cselect_b32 s4, s20, s22
	s_cselect_b32 s0, s28, s30
	s_cselect_b32 s5, s29, s31
	s_ashr_i32 s3, s2, 31
	s_mul_i32 s3, s3, s6
	s_mul_hi_u32 s7, s2, s6
	s_add_i32 s3, s7, s3
	s_mul_i32 s2, s2, s6
	s_lshl_b64 s[2:3], s[2:3], 1
	s_add_u32 s20, s4, s2
	s_addc_u32 s1, s1, s3
	s_add_i32 s2, s11, 1
	s_lshr_b32 s3, s2, 31
	s_add_i32 s2, s2, s3
	v_and_b32_e32 v2, 0x3c0, v0
	s_lshl_b32 s2, s2, 1
	v_lshlrev_b32_e32 v1, 3, v0
	v_mul_u32_u24_e32 v2, 24, v2
	s_movk_i32 s4, 0x1f8
	s_and_b32 s2, s2, -4
	s_mov_b32 s3, 0x20000
	v_and_or_b32 v1, v1, s4, v2
	s_and_b32 s21, s1, 0xffff
	s_mov_b32 s22, s2
	s_mov_b32 s23, s3
	v_lshlrev_b32_e32 v1, 1, v1
	buffer_load_dwordx4 v[14:17], v1, s[20:23], 0 offen glc slc
	s_movk_i32 s10, 0x400
	s_movk_i32 s7, 0x800
	buffer_load_dwordx4 v[38:41], v1, s[20:23], s7 offen glc slc
	buffer_load_dwordx4 v[18:21], v1, s[20:23], s10 offen glc slc
	s_and_b32 s1, s5, 0xffff
	buffer_load_dwordx4 v[10:13], v1, s[0:3], 0 offen
	buffer_load_dwordx4 v[6:9], v1, s[0:3], s10 offen
	;; [unrolled: 1-line block ×3, first 2 shown]
	v_and_b32_e32 v58, 63, v0
	v_cmp_eq_u32_e64 s[0:1], 63, v58
	s_waitcnt vmcnt(5)
	v_and_b32_e32 v37, 0xffff0000, v14
	v_lshlrev_b32_e32 v36, 16, v14
	v_and_b32_e32 v35, 0xffff0000, v15
	v_lshlrev_b32_e32 v34, 16, v15
	s_waitcnt vmcnt(3)
	v_and_b32_e32 v29, 0xffff0000, v18
	v_lshlrev_b32_e32 v28, 16, v18
	v_and_b32_e32 v27, 0xffff0000, v19
	v_lshlrev_b32_e32 v26, 16, v19
	;; [unrolled: 2-line block ×6, first 2 shown]
	v_pk_mul_f32 v[38:39], v[36:37], v[36:37]
	v_and_b32_e32 v33, 0xffff0000, v16
	v_lshlrev_b32_e32 v32, 16, v16
	v_and_b32_e32 v31, 0xffff0000, v17
	v_lshlrev_b32_e32 v30, 16, v17
	;; [unrolled: 2-line block ×4, first 2 shown]
	v_pk_mul_f32 v[40:41], v[34:35], v[34:35]
	v_add_f32_e32 v59, v38, v39
	v_add_f32_e32 v40, v59, v40
	v_pk_mul_f32 v[42:43], v[32:33], v[32:33]
	v_add_f32_e32 v59, v40, v41
	v_add_f32_e32 v42, v59, v42
	;; [unrolled: 3-line block ×11, first 2 shown]
	v_add_f32_e32 v38, v38, v41
	s_nop 1
	v_mov_b32_dpp v39, v38 quad_perm:[1,0,3,2] row_mask:0xf bank_mask:0xf
	v_add_f32_e32 v38, v38, v39
	s_nop 1
	v_mov_b32_dpp v39, v38 quad_perm:[2,3,0,1] row_mask:0xf bank_mask:0xf
	v_add_f32_e32 v38, v38, v39
	s_nop 1
	v_mov_b32_dpp v39, v38 row_half_mirror row_mask:0xf bank_mask:0xf
	v_add_f32_e32 v38, v38, v39
	s_nop 1
	v_mov_b32_dpp v39, v38 row_mirror row_mask:0xf bank_mask:0xf
	v_add_f32_e32 v38, v38, v39
	s_nop 1
	v_mov_b32_dpp v39, v38 row_bcast:15 row_mask:0xf bank_mask:0xf
	v_add_f32_e32 v38, v38, v39
	s_nop 1
	v_mov_b32_dpp v39, v38 row_bcast:31 row_mask:0xf bank_mask:0xf
	s_and_saveexec_b64 s[4:5], s[0:1]
	s_cbranch_execz .LBB20_3
; %bb.2:
	v_add_f32_e32 v38, v38, v39
	v_lshrrev_b32_e32 v39, 4, v0
	v_and_b32_e32 v39, 60, v39
	ds_write_b32 v39, v38
.LBB20_3:
	s_or_b64 exec, exec, s[4:5]
	v_and_b32_e32 v0, 3, v0
	v_lshlrev_b32_e32 v0, 2, v0
	s_waitcnt lgkmcnt(0)
	s_barrier
	ds_read_b32 v0, v0
	v_mov_b32_e32 v41, s9
	v_mov_b32_e32 v42, s8
	v_cndmask_b32_e32 v41, v41, v42, vcc
	s_and_b64 s[0:1], vcc, exec
	s_waitcnt lgkmcnt(0)
	v_mov_b32_dpp v38, v0 quad_perm:[1,0,3,2] row_mask:0xf bank_mask:0xf
	v_add_f32_e32 v0, v0, v38
	v_cvt_f32_i32_e32 v38, s11
	s_cselect_b32 s4, s17, s19
	v_mov_b32_dpp v39, v0 quad_perm:[2,3,0,1] row_mask:0xf bank_mask:0xf
	v_add_f32_e32 v0, v0, v39
	v_div_scale_f32 v39, s[0:1], v38, v38, v0
	v_rcp_f32_e32 v40, v39
	s_mov_b32 s0, 0x800000
	s_cselect_b32 s5, s16, s18
	v_fma_f32 v42, -v39, v40, 1.0
	v_fmac_f32_e32 v40, v42, v40
	v_div_scale_f32 v42, vcc, v0, v38, v0
	v_mul_f32_e32 v43, v42, v40
	v_fma_f32 v44, -v39, v43, v42
	v_fmac_f32_e32 v43, v44, v40
	v_fma_f32 v39, -v39, v43, v42
	v_div_fmas_f32 v39, v39, v40, v43
	v_div_fixup_f32 v0, v39, v38, v0
	v_add_f32_e32 v0, v41, v0
	v_mul_f32_e32 v38, 0x4b800000, v0
	v_cmp_gt_f32_e32 vcc, s0, v0
	v_cndmask_b32_e32 v0, v0, v38, vcc
	v_rsq_f32_e32 v0, v0
	s_cselect_b32 s0, s15, s24
	s_ashr_i32 s1, s0, 31
	s_mul_i32 s1, s1, s6
	v_mul_f32_e32 v38, 0x45800000, v0
	v_cndmask_b32_e32 v38, v0, v38, vcc
	s_mul_hi_u32 s8, s0, s6
	v_mov_b32_e32 v39, v38
	s_add_i32 s1, s8, s1
	s_mul_i32 s0, s0, s6
	;;#ASMSTART
	v_pk_mul_f32 v[36:37], v[36:37], v[38:39]
	;;#ASMEND
	;;#ASMSTART
	v_pk_mul_f32 v[34:35], v[34:35], v[38:39]
	;;#ASMEND
	;; [unrolled: 3-line block ×12, first 2 shown]
	s_waitcnt vmcnt(2)
	v_cvt_f32_u32_sdwa v39, v10 dst_sel:DWORD dst_unused:UNUSED_PAD src0_sel:WORD_1
	v_cvt_f32_u32_sdwa v38, v10 dst_sel:DWORD dst_unused:UNUSED_PAD src0_sel:WORD_0
	v_cvt_f32_u32_sdwa v41, v11 dst_sel:DWORD dst_unused:UNUSED_PAD src0_sel:WORD_1
	v_cvt_f32_u32_sdwa v40, v11 dst_sel:DWORD dst_unused:UNUSED_PAD src0_sel:WORD_0
	;; [unrolled: 2-line block ×3, first 2 shown]
	s_lshl_b64 s[0:1], s[0:1], 1
	v_cvt_f32_u32_sdwa v43, v13 dst_sel:DWORD dst_unused:UNUSED_PAD src0_sel:WORD_1
	v_cvt_f32_u32_sdwa v42, v13 dst_sel:DWORD dst_unused:UNUSED_PAD src0_sel:WORD_0
	;;#ASMSTART
	v_pk_mul_f32 v[12:13], v[36:37], v[38:39]
	;;#ASMEND
	;;#ASMSTART
	v_pk_mul_f32 v[34:35], v[34:35], v[40:41]
	;;#ASMEND
	;; [unrolled: 3-line block ×3, first 2 shown]
	s_waitcnt vmcnt(1)
	v_cvt_f32_u32_sdwa v33, v6 dst_sel:DWORD dst_unused:UNUSED_PAD src0_sel:WORD_1
	v_cvt_f32_u32_sdwa v32, v6 dst_sel:DWORD dst_unused:UNUSED_PAD src0_sel:WORD_0
	v_cvt_f32_u32_sdwa v37, v7 dst_sel:DWORD dst_unused:UNUSED_PAD src0_sel:WORD_1
	v_cvt_f32_u32_sdwa v36, v7 dst_sel:DWORD dst_unused:UNUSED_PAD src0_sel:WORD_0
	;; [unrolled: 2-line block ×3, first 2 shown]
	s_add_u32 s0, s5, s0
	;;#ASMSTART
	v_pk_mul_f32 v[30:31], v[30:31], v[42:43]
	;;#ASMEND
	v_cvt_f32_u32_sdwa v39, v9 dst_sel:DWORD dst_unused:UNUSED_PAD src0_sel:WORD_1
	v_cvt_f32_u32_sdwa v38, v9 dst_sel:DWORD dst_unused:UNUSED_PAD src0_sel:WORD_0
	;;#ASMSTART
	v_pk_mul_f32 v[8:9], v[28:29], v[32:33]
	;;#ASMEND
	;;#ASMSTART
	v_pk_mul_f32 v[26:27], v[26:27], v[36:37]
	;;#ASMEND
	;; [unrolled: 3-line block ×3, first 2 shown]
	s_waitcnt vmcnt(0)
	v_cvt_f32_u32_sdwa v25, v2 dst_sel:DWORD dst_unused:UNUSED_PAD src0_sel:WORD_1
	v_cvt_f32_u32_sdwa v24, v2 dst_sel:DWORD dst_unused:UNUSED_PAD src0_sel:WORD_0
	v_cvt_f32_u32_sdwa v29, v3 dst_sel:DWORD dst_unused:UNUSED_PAD src0_sel:WORD_1
	v_cvt_f32_u32_sdwa v28, v3 dst_sel:DWORD dst_unused:UNUSED_PAD src0_sel:WORD_0
	;; [unrolled: 2-line block ×3, first 2 shown]
	s_addc_u32 s1, s4, s1
	s_mov_b32 s4, 0x7060302
	;;#ASMSTART
	v_pk_mul_f32 v[22:23], v[22:23], v[38:39]
	;;#ASMEND
	v_cvt_f32_u32_sdwa v33, v5 dst_sel:DWORD dst_unused:UNUSED_PAD src0_sel:WORD_1
	v_cvt_f32_u32_sdwa v32, v5 dst_sel:DWORD dst_unused:UNUSED_PAD src0_sel:WORD_0
	;;#ASMSTART
	v_pk_mul_f32 v[20:21], v[20:21], v[24:25]
	;;#ASMEND
	;;#ASMSTART
	v_pk_mul_f32 v[18:19], v[18:19], v[28:29]
	;;#ASMEND
	;; [unrolled: 3-line block ×3, first 2 shown]
	s_and_b32 s1, s1, 0xffff
	v_perm_b32 v2, v13, v12, s4
	v_perm_b32 v3, v35, v34, s4
	;; [unrolled: 1-line block ×4, first 2 shown]
	;;#ASMSTART
	v_pk_mul_f32 v[14:15], v[14:15], v[32:33]
	;;#ASMEND
	buffer_store_dwordx4 v[2:5], v1, s[0:3], 0 offen
	;;#ASMSTART
	s_nop 0
	;;#ASMEND
	s_nop 0
	v_perm_b32 v2, v9, v8, s4
	v_perm_b32 v3, v27, v26, s4
	;; [unrolled: 1-line block ×4, first 2 shown]
	buffer_store_dwordx4 v[2:5], v1, s[0:3], s10 offen
	v_perm_b32 v2, v21, v20, s4
	v_perm_b32 v3, v19, v18, s4
	;; [unrolled: 1-line block ×4, first 2 shown]
	;;#ASMSTART
	s_nop 0
	;;#ASMEND
	buffer_store_dwordx4 v[2:5], v1, s[0:3], s7 offen
	;;#ASMSTART
	s_nop 0
	;;#ASMEND
.LBB20_4:
	s_endpgm
	.section	.rodata,"a",@progbits
	.p2align	6, 0x0
	.amdhsa_kernel _ZN5aiter23fused_qk_rmsnorm_kernelItLi256ELi24ELb1ELi1EEEvPT_S2_PKS1_S4_S4_S4_ffiiiiiii
		.amdhsa_group_segment_fixed_size 16
		.amdhsa_private_segment_fixed_size 0
		.amdhsa_kernarg_size 84
		.amdhsa_user_sgpr_count 6
		.amdhsa_user_sgpr_private_segment_buffer 1
		.amdhsa_user_sgpr_dispatch_ptr 0
		.amdhsa_user_sgpr_queue_ptr 0
		.amdhsa_user_sgpr_kernarg_segment_ptr 1
		.amdhsa_user_sgpr_dispatch_id 0
		.amdhsa_user_sgpr_flat_scratch_init 0
		.amdhsa_user_sgpr_kernarg_preload_length 0
		.amdhsa_user_sgpr_kernarg_preload_offset 0
		.amdhsa_user_sgpr_private_segment_size 0
		.amdhsa_uses_dynamic_stack 0
		.amdhsa_system_sgpr_private_segment_wavefront_offset 0
		.amdhsa_system_sgpr_workgroup_id_x 1
		.amdhsa_system_sgpr_workgroup_id_y 1
		.amdhsa_system_sgpr_workgroup_id_z 0
		.amdhsa_system_sgpr_workgroup_info 0
		.amdhsa_system_vgpr_workitem_id 0
		.amdhsa_next_free_vgpr 60
		.amdhsa_next_free_sgpr 32
		.amdhsa_accum_offset 60
		.amdhsa_reserve_vcc 1
		.amdhsa_reserve_flat_scratch 0
		.amdhsa_float_round_mode_32 0
		.amdhsa_float_round_mode_16_64 0
		.amdhsa_float_denorm_mode_32 3
		.amdhsa_float_denorm_mode_16_64 3
		.amdhsa_dx10_clamp 1
		.amdhsa_ieee_mode 1
		.amdhsa_fp16_overflow 0
		.amdhsa_tg_split 0
		.amdhsa_exception_fp_ieee_invalid_op 0
		.amdhsa_exception_fp_denorm_src 0
		.amdhsa_exception_fp_ieee_div_zero 0
		.amdhsa_exception_fp_ieee_overflow 0
		.amdhsa_exception_fp_ieee_underflow 0
		.amdhsa_exception_fp_ieee_inexact 0
		.amdhsa_exception_int_div_zero 0
	.end_amdhsa_kernel
	.section	.text._ZN5aiter23fused_qk_rmsnorm_kernelItLi256ELi24ELb1ELi1EEEvPT_S2_PKS1_S4_S4_S4_ffiiiiiii,"axG",@progbits,_ZN5aiter23fused_qk_rmsnorm_kernelItLi256ELi24ELb1ELi1EEEvPT_S2_PKS1_S4_S4_S4_ffiiiiiii,comdat
.Lfunc_end20:
	.size	_ZN5aiter23fused_qk_rmsnorm_kernelItLi256ELi24ELb1ELi1EEEvPT_S2_PKS1_S4_S4_S4_ffiiiiiii, .Lfunc_end20-_ZN5aiter23fused_qk_rmsnorm_kernelItLi256ELi24ELb1ELi1EEEvPT_S2_PKS1_S4_S4_S4_ffiiiiiii
                                        ; -- End function
	.section	.AMDGPU.csdata,"",@progbits
; Kernel info:
; codeLenInByte = 1552
; NumSgprs: 36
; NumVgprs: 60
; NumAgprs: 0
; TotalNumVgprs: 60
; ScratchSize: 0
; MemoryBound: 0
; FloatMode: 240
; IeeeMode: 1
; LDSByteSize: 16 bytes/workgroup (compile time only)
; SGPRBlocks: 4
; VGPRBlocks: 7
; NumSGPRsForWavesPerEU: 36
; NumVGPRsForWavesPerEU: 60
; AccumOffset: 60
; Occupancy: 8
; WaveLimiterHint : 0
; COMPUTE_PGM_RSRC2:SCRATCH_EN: 0
; COMPUTE_PGM_RSRC2:USER_SGPR: 6
; COMPUTE_PGM_RSRC2:TRAP_HANDLER: 0
; COMPUTE_PGM_RSRC2:TGID_X_EN: 1
; COMPUTE_PGM_RSRC2:TGID_Y_EN: 1
; COMPUTE_PGM_RSRC2:TGID_Z_EN: 0
; COMPUTE_PGM_RSRC2:TIDIG_COMP_CNT: 0
; COMPUTE_PGM_RSRC3_GFX90A:ACCUM_OFFSET: 14
; COMPUTE_PGM_RSRC3_GFX90A:TG_SPLIT: 0
	.section	.text._ZN5aiter23fused_qk_rmsnorm_kernelIDF16_Li256ELi32ELb1ELi2EEEvPT_S2_PKS1_S4_S4_S4_ffiiiiiii,"axG",@progbits,_ZN5aiter23fused_qk_rmsnorm_kernelIDF16_Li256ELi32ELb1ELi2EEEvPT_S2_PKS1_S4_S4_S4_ffiiiiiii,comdat
	.protected	_ZN5aiter23fused_qk_rmsnorm_kernelIDF16_Li256ELi32ELb1ELi2EEEvPT_S2_PKS1_S4_S4_S4_ffiiiiiii ; -- Begin function _ZN5aiter23fused_qk_rmsnorm_kernelIDF16_Li256ELi32ELb1ELi2EEEvPT_S2_PKS1_S4_S4_S4_ffiiiiiii
	.globl	_ZN5aiter23fused_qk_rmsnorm_kernelIDF16_Li256ELi32ELb1ELi2EEEvPT_S2_PKS1_S4_S4_S4_ffiiiiiii
	.p2align	8
	.type	_ZN5aiter23fused_qk_rmsnorm_kernelIDF16_Li256ELi32ELb1ELi2EEEvPT_S2_PKS1_S4_S4_S4_ffiiiiiii,@function
_ZN5aiter23fused_qk_rmsnorm_kernelIDF16_Li256ELi32ELb1ELi2EEEvPT_S2_PKS1_S4_S4_S4_ffiiiiiii: ; @_ZN5aiter23fused_qk_rmsnorm_kernelIDF16_Li256ELi32ELb1ELi2EEEvPT_S2_PKS1_S4_S4_S4_ffiiiiiii
; %bb.0:
	s_load_dwordx8 s[8:15], s[4:5], 0x30
	s_mov_b32 s0, s6
	s_mov_b32 s1, 0
	s_lshl_b64 s[16:17], s[0:1], 1
	s_waitcnt lgkmcnt(0)
	s_ashr_i32 s19, s10, 31
	s_mov_b32 s18, s10
	v_pk_mov_b32 v[2:3], s[18:19], s[18:19] op_sel:[0,1]
	v_cmp_ge_i64_e32 vcc, s[16:17], v[2:3]
	s_cbranch_vccnz .LBB21_9
; %bb.1:
	s_load_dwordx8 s[24:31], s[4:5], 0x0
	s_load_dwordx4 s[0:3], s[4:5], 0x20
	s_load_dword s6, s[4:5], 0x50
	s_cmp_eq_u32 s7, 0
	s_cselect_b64 vcc, -1, 0
	s_and_b64 s[4:5], vcc, exec
	v_mov_b32_e32 v2, s8
	s_waitcnt lgkmcnt(0)
	s_cselect_b32 s8, s0, s2
	s_cselect_b32 s2, s13, s14
	;; [unrolled: 1-line block ×9, first 2 shown]
	s_ashr_i32 s3, s2, 31
	s_mul_i32 s0, s16, s3
	s_mul_hi_u32 s1, s16, s2
	s_add_i32 s0, s1, s0
	s_mul_i32 s1, s17, s2
	s_add_i32 s1, s0, s1
	s_mul_i32 s0, s16, s2
	s_lshl_b64 s[0:1], s[0:1], 1
	s_add_u32 s4, s4, s0
	s_addc_u32 s13, s5, s1
	s_add_i32 s0, s12, 1
	s_lshr_b32 s1, s0, 31
	v_mov_b32_e32 v1, s9
	s_add_i32 s0, s0, s1
	v_cndmask_b32_e32 v82, v1, v2, vcc
	s_lshl_b32 s0, s0, 1
	v_lshlrev_b32_e32 v2, 6, v0
	s_and_b32 s10, s0, -4
	v_lshlrev_b32_e32 v1, 4, v0
	v_and_b32_e32 v2, 0xf000, v2
	s_movk_i32 s0, 0x3f0
	s_and_b32 s9, s7, 0xffff
	s_mov_b32 s11, 0x20000
	v_and_or_b32 v83, v1, s0, v2
	s_movk_i32 s25, 0x400
	s_movk_i32 s26, 0x800
	;; [unrolled: 1-line block ×3, first 2 shown]
	buffer_load_dwordx4 v[6:9], v83, s[8:11], 0 offen
	buffer_load_dwordx4 v[10:13], v83, s[8:11], s25 offen
	;; [unrolled: 1-line block ×4, first 2 shown]
	s_and_b32 s5, s13, 0xffff
	s_mov_b32 s6, s10
	s_mov_b32 s7, s11
	buffer_load_dwordx4 v[30:33], v83, s[4:7], 0 offen glc slc
	buffer_load_dwordx4 v[26:29], v83, s[4:7], s25 offen glc slc
	;; [unrolled: 1-line block ×4, first 2 shown]
	s_mov_b32 s7, s17
	v_pk_mov_b32 v[34:35], s[18:19], s[18:19] op_sel:[0,1]
	v_and_b32_e32 v1, 63, v0
	v_lshrrev_b32_e32 v36, 4, v0
	v_and_b32_e32 v0, 3, v0
	s_or_b32 s6, s16, 1
	v_cmp_eq_u32_e64 s[0:1], 63, v1
	v_and_b32_e32 v84, 60, v36
	v_lshlrev_b32_e32 v85, 2, v0
	v_cvt_f32_i32_e32 v86, s12
	s_lshl_b64 s[8:9], s[2:3], 1
	v_cmp_lt_u64_e64 s[2:3], s[6:7], v[34:35]
	s_add_u32 s12, s4, s8
	s_addc_u32 s4, s13, s9
	s_mov_b64 s[14:15], s[10:11]
	s_ashr_i32 s28, s24, 31
	s_and_b32 s13, s4, 0xffff
	s_mov_b64 s[4:5], 0
	s_mov_b64 s[6:7], -1
	s_mov_b32 s29, 0x800000
	s_waitcnt vmcnt(7)
	v_cvt_f32_f16_e32 v0, v6
	v_cvt_f32_f16_sdwa v1, v6 dst_sel:DWORD dst_unused:UNUSED_PAD src0_sel:WORD_1
	v_cvt_f32_f16_e32 v34, v7
	v_cvt_f32_f16_sdwa v35, v7 dst_sel:DWORD dst_unused:UNUSED_PAD src0_sel:WORD_1
	v_cvt_f32_f16_e32 v36, v8
	v_cvt_f32_f16_sdwa v37, v8 dst_sel:DWORD dst_unused:UNUSED_PAD src0_sel:WORD_1
	v_cvt_f32_f16_e32 v38, v9
	v_cvt_f32_f16_sdwa v39, v9 dst_sel:DWORD dst_unused:UNUSED_PAD src0_sel:WORD_1
	s_waitcnt vmcnt(6)
	v_cvt_f32_f16_e32 v40, v10
	v_cvt_f32_f16_sdwa v41, v10 dst_sel:DWORD dst_unused:UNUSED_PAD src0_sel:WORD_1
	v_cvt_f32_f16_e32 v42, v11
	v_cvt_f32_f16_sdwa v43, v11 dst_sel:DWORD dst_unused:UNUSED_PAD src0_sel:WORD_1
	v_cvt_f32_f16_e32 v44, v12
	v_cvt_f32_f16_sdwa v45, v12 dst_sel:DWORD dst_unused:UNUSED_PAD src0_sel:WORD_1
	v_cvt_f32_f16_e32 v46, v13
	v_cvt_f32_f16_sdwa v47, v13 dst_sel:DWORD dst_unused:UNUSED_PAD src0_sel:WORD_1
	;; [unrolled: 9-line block ×4, first 2 shown]
	s_branch .LBB21_4
.LBB21_2:                               ;   in Loop: Header=BB21_4 Depth=1
	s_or_b64 exec, exec, s[20:21]
	s_waitcnt lgkmcnt(0)
	s_barrier
	ds_read_b32 v4, v85
	s_mul_i32 s9, s9, s24
	s_waitcnt lgkmcnt(0)
	v_mov_b32_dpp v5, v4 quad_perm:[1,0,3,2] row_mask:0xf bank_mask:0xf
	v_add_f32_e32 v4, v4, v5
	s_nop 1
	v_mov_b32_dpp v5, v4 quad_perm:[2,3,0,1] row_mask:0xf bank_mask:0xf
	v_add_f32_e32 v4, v4, v5
	v_div_scale_f32 v5, s[20:21], v86, v86, v4
	v_rcp_f32_e32 v87, v5
	v_div_scale_f32 v88, vcc, v4, v86, v4
	s_mul_i32 s20, s8, s28
	v_fma_f32 v89, -v5, v87, 1.0
	v_fmac_f32_e32 v87, v89, v87
	v_mul_f32_e32 v89, v88, v87
	v_fma_f32 v90, -v5, v89, v88
	v_fmac_f32_e32 v89, v90, v87
	v_fma_f32 v5, -v5, v89, v88
	v_div_fmas_f32 v5, v5, v87, v89
	v_div_fixup_f32 v4, v5, v86, v4
	v_add_f32_e32 v4, v82, v4
	v_mul_f32_e32 v5, 0x4b800000, v4
	v_cmp_gt_f32_e32 vcc, s29, v4
	v_cndmask_b32_e32 v4, v4, v5, vcc
	v_rsq_f32_e32 v4, v4
	s_mul_hi_u32 s21, s8, s24
	s_add_i32 s20, s21, s20
	s_add_i32 s9, s20, s9
	v_mul_f32_e32 v5, 0x45800000, v4
	v_cndmask_b32_e32 v4, v4, v5, vcc
	v_mov_b32_e32 v5, v4
	;;#ASMSTART
	v_pk_mul_f32 v[64:65], v[64:65], v[4:5]
	;;#ASMEND
	;;#ASMSTART
	v_pk_mul_f32 v[66:67], v[66:67], v[4:5]
	;;#ASMEND
	;; [unrolled: 3-line block ×32, first 2 shown]
	s_mul_i32 s8, s8, s24
	v_cvt_f16_f32_e32 v2, v64
	v_cvt_f16_f32_e32 v3, v65
	;; [unrolled: 1-line block ×8, first 2 shown]
	s_lshl_b64 s[8:9], s[8:9], 1
	s_add_u32 s8, s23, s8
	s_addc_u32 s9, s22, s9
	s_and_b32 s9, s9, 0xffff
	v_pack_b32_f16 v2, v2, v3
	v_pack_b32_f16 v3, v4, v5
	;; [unrolled: 1-line block ×4, first 2 shown]
	buffer_store_dwordx4 v[2:5], v83, s[8:11], 0 offen
	v_cvt_f16_f32_e32 v26, v26
	v_cvt_f16_f32_e32 v2, v32
	v_cvt_f16_f32_e32 v3, v33
	v_cvt_f16_f32_e32 v4, v70
	v_cvt_f16_f32_e32 v5, v71
	v_cvt_f16_f32_e32 v27, v27
	v_cvt_f16_f32_e32 v30, v72
	v_cvt_f16_f32_e32 v31, v73
	v_pack_b32_f16 v2, v2, v3
	v_pack_b32_f16 v3, v4, v5
	v_pack_b32_f16 v4, v26, v27
	v_pack_b32_f16 v5, v30, v31
	;;#ASMSTART
	s_nop 0
	;;#ASMEND
	buffer_store_dwordx4 v[2:5], v83, s[8:11], s25 offen
	v_cvt_f16_f32_e32 v2, v28
	v_cvt_f16_f32_e32 v3, v29
	v_cvt_f16_f32_e32 v4, v74
	v_cvt_f16_f32_e32 v5, v75
	v_cvt_f16_f32_e32 v18, v18
	v_cvt_f16_f32_e32 v19, v19
	v_cvt_f16_f32_e32 v26, v76
	v_cvt_f16_f32_e32 v27, v77
	v_pack_b32_f16 v2, v2, v3
	v_pack_b32_f16 v3, v4, v5
	v_pack_b32_f16 v4, v18, v19
	v_pack_b32_f16 v5, v26, v27
	;;#ASMSTART
	s_nop 0
	;;#ASMEND
	;; [unrolled: 16-line block ×3, first 2 shown]
	buffer_store_dwordx4 v[2:5], v83, s[8:11], s27 offen
	s_waitcnt vmcnt(4)
	v_mov_b32_e32 v5, v25
	v_mov_b32_e32 v4, v24
	v_mov_b32_e32 v3, v23
	v_mov_b32_e32 v2, v22
	v_mov_b32_e32 v21, v17
	v_mov_b32_e32 v20, v16
	v_mov_b32_e32 v19, v15
	v_mov_b32_e32 v18, v14
	v_mov_b32_e32 v29, v13
	v_mov_b32_e32 v28, v12
	v_mov_b32_e32 v27, v11
	v_mov_b32_e32 v26, v10
	v_mov_b32_e32 v33, v9
	v_mov_b32_e32 v32, v8
	v_mov_b32_e32 v31, v7
	v_mov_b32_e32 v30, v6
	;;#ASMSTART
	s_nop 0
	;;#ASMEND
.LBB21_3:                               ;   in Loop: Header=BB21_4 Depth=1
	s_and_b64 s[8:9], s[4:5], s[6:7]
	s_mov_b64 s[4:5], 1
	s_mov_b64 s[6:7], 0
	s_and_b64 vcc, exec, s[8:9]
	s_cbranch_vccz .LBB21_9
.LBB21_4:                               ; =>This Inner Loop Header: Depth=1
	s_or_b64 s[8:9], s[16:17], s[4:5]
	v_pk_mov_b32 v[6:7], s[18:19], s[18:19] op_sel:[0,1]
	v_cmp_ge_i64_e32 vcc, s[8:9], v[6:7]
	v_cmp_lt_i64_e64 s[4:5], s[8:9], v[6:7]
	s_cbranch_vccnz .LBB21_3
; %bb.5:                                ;   in Loop: Header=BB21_4 Depth=1
	s_and_b64 s[20:21], s[6:7], s[2:3]
	s_andn2_b64 vcc, exec, s[20:21]
	s_waitcnt vmcnt(3)
	v_mov_b32_e32 v6, v30
	v_mov_b32_e32 v7, v31
	v_mov_b32_e32 v8, v32
	v_mov_b32_e32 v9, v33
	s_waitcnt vmcnt(2)
	v_mov_b32_e32 v10, v26
	v_mov_b32_e32 v11, v27
	v_mov_b32_e32 v12, v28
	v_mov_b32_e32 v13, v29
	;; [unrolled: 5-line block ×4, first 2 shown]
	s_cbranch_vccnz .LBB21_7
; %bb.6:                                ;   in Loop: Header=BB21_4 Depth=1
	buffer_load_dwordx4 v[6:9], v83, s[12:15], 0 offen glc slc
	buffer_load_dwordx4 v[10:13], v83, s[12:15], s25 offen glc slc
	;; [unrolled: 1-line block ×4, first 2 shown]
.LBB21_7:                               ;   in Loop: Header=BB21_4 Depth=1
	v_cvt_f32_f16_sdwa v65, v30 dst_sel:DWORD dst_unused:UNUSED_PAD src0_sel:WORD_1
	v_cvt_f32_f16_e32 v64, v30
	v_cvt_f32_f16_sdwa v67, v31 dst_sel:DWORD dst_unused:UNUSED_PAD src0_sel:WORD_1
	v_cvt_f32_f16_e32 v66, v31
	;; [unrolled: 2-line block ×16, first 2 shown]
	v_pk_mul_f32 v[4:5], v[64:65], v[64:65]
	v_pk_mul_f32 v[88:89], v[66:67], v[66:67]
	v_add_f32_e32 v4, v4, v5
	v_add_f32_e32 v4, v4, v88
	v_pk_mul_f32 v[90:91], v[30:31], v[30:31]
	v_add_f32_e32 v4, v4, v89
	v_add_f32_e32 v4, v4, v90
	;; [unrolled: 3-line block ×15, first 2 shown]
	v_add_f32_e32 v4, v4, v117
	s_nop 1
	v_mov_b32_dpp v5, v4 quad_perm:[1,0,3,2] row_mask:0xf bank_mask:0xf
	v_add_f32_e32 v4, v4, v5
	s_nop 1
	v_mov_b32_dpp v5, v4 quad_perm:[2,3,0,1] row_mask:0xf bank_mask:0xf
	v_add_f32_e32 v4, v4, v5
	s_nop 1
	v_mov_b32_dpp v5, v4 row_half_mirror row_mask:0xf bank_mask:0xf
	v_add_f32_e32 v4, v4, v5
	s_nop 1
	v_mov_b32_dpp v5, v4 row_mirror row_mask:0xf bank_mask:0xf
	v_add_f32_e32 v4, v4, v5
	s_nop 1
	v_mov_b32_dpp v5, v4 row_bcast:15 row_mask:0xf bank_mask:0xf
	v_add_f32_e32 v4, v4, v5
	s_nop 1
	v_mov_b32_dpp v5, v4 row_bcast:31 row_mask:0xf bank_mask:0xf
	s_and_saveexec_b64 s[20:21], s[0:1]
	s_cbranch_execz .LBB21_2
; %bb.8:                                ;   in Loop: Header=BB21_4 Depth=1
	v_add_f32_e32 v4, v4, v5
	ds_write_b32 v84, v4
	s_branch .LBB21_2
.LBB21_9:
	s_endpgm
	.section	.rodata,"a",@progbits
	.p2align	6, 0x0
	.amdhsa_kernel _ZN5aiter23fused_qk_rmsnorm_kernelIDF16_Li256ELi32ELb1ELi2EEEvPT_S2_PKS1_S4_S4_S4_ffiiiiiii
		.amdhsa_group_segment_fixed_size 16
		.amdhsa_private_segment_fixed_size 0
		.amdhsa_kernarg_size 84
		.amdhsa_user_sgpr_count 6
		.amdhsa_user_sgpr_private_segment_buffer 1
		.amdhsa_user_sgpr_dispatch_ptr 0
		.amdhsa_user_sgpr_queue_ptr 0
		.amdhsa_user_sgpr_kernarg_segment_ptr 1
		.amdhsa_user_sgpr_dispatch_id 0
		.amdhsa_user_sgpr_flat_scratch_init 0
		.amdhsa_user_sgpr_kernarg_preload_length 0
		.amdhsa_user_sgpr_kernarg_preload_offset 0
		.amdhsa_user_sgpr_private_segment_size 0
		.amdhsa_uses_dynamic_stack 0
		.amdhsa_system_sgpr_private_segment_wavefront_offset 0
		.amdhsa_system_sgpr_workgroup_id_x 1
		.amdhsa_system_sgpr_workgroup_id_y 1
		.amdhsa_system_sgpr_workgroup_id_z 0
		.amdhsa_system_sgpr_workgroup_info 0
		.amdhsa_system_vgpr_workitem_id 0
		.amdhsa_next_free_vgpr 118
		.amdhsa_next_free_sgpr 32
		.amdhsa_accum_offset 120
		.amdhsa_reserve_vcc 1
		.amdhsa_reserve_flat_scratch 0
		.amdhsa_float_round_mode_32 0
		.amdhsa_float_round_mode_16_64 0
		.amdhsa_float_denorm_mode_32 3
		.amdhsa_float_denorm_mode_16_64 3
		.amdhsa_dx10_clamp 1
		.amdhsa_ieee_mode 1
		.amdhsa_fp16_overflow 0
		.amdhsa_tg_split 0
		.amdhsa_exception_fp_ieee_invalid_op 0
		.amdhsa_exception_fp_denorm_src 0
		.amdhsa_exception_fp_ieee_div_zero 0
		.amdhsa_exception_fp_ieee_overflow 0
		.amdhsa_exception_fp_ieee_underflow 0
		.amdhsa_exception_fp_ieee_inexact 0
		.amdhsa_exception_int_div_zero 0
	.end_amdhsa_kernel
	.section	.text._ZN5aiter23fused_qk_rmsnorm_kernelIDF16_Li256ELi32ELb1ELi2EEEvPT_S2_PKS1_S4_S4_S4_ffiiiiiii,"axG",@progbits,_ZN5aiter23fused_qk_rmsnorm_kernelIDF16_Li256ELi32ELb1ELi2EEEvPT_S2_PKS1_S4_S4_S4_ffiiiiiii,comdat
.Lfunc_end21:
	.size	_ZN5aiter23fused_qk_rmsnorm_kernelIDF16_Li256ELi32ELb1ELi2EEEvPT_S2_PKS1_S4_S4_S4_ffiiiiiii, .Lfunc_end21-_ZN5aiter23fused_qk_rmsnorm_kernelIDF16_Li256ELi32ELb1ELi2EEEvPT_S2_PKS1_S4_S4_S4_ffiiiiiii
                                        ; -- End function
	.section	.AMDGPU.csdata,"",@progbits
; Kernel info:
; codeLenInByte = 2232
; NumSgprs: 36
; NumVgprs: 118
; NumAgprs: 0
; TotalNumVgprs: 118
; ScratchSize: 0
; MemoryBound: 0
; FloatMode: 240
; IeeeMode: 1
; LDSByteSize: 16 bytes/workgroup (compile time only)
; SGPRBlocks: 4
; VGPRBlocks: 14
; NumSGPRsForWavesPerEU: 36
; NumVGPRsForWavesPerEU: 118
; AccumOffset: 120
; Occupancy: 4
; WaveLimiterHint : 0
; COMPUTE_PGM_RSRC2:SCRATCH_EN: 0
; COMPUTE_PGM_RSRC2:USER_SGPR: 6
; COMPUTE_PGM_RSRC2:TRAP_HANDLER: 0
; COMPUTE_PGM_RSRC2:TGID_X_EN: 1
; COMPUTE_PGM_RSRC2:TGID_Y_EN: 1
; COMPUTE_PGM_RSRC2:TGID_Z_EN: 0
; COMPUTE_PGM_RSRC2:TIDIG_COMP_CNT: 0
; COMPUTE_PGM_RSRC3_GFX90A:ACCUM_OFFSET: 29
; COMPUTE_PGM_RSRC3_GFX90A:TG_SPLIT: 0
	.section	.text._ZN5aiter23fused_qk_rmsnorm_kernelItLi256ELi32ELb1ELi2EEEvPT_S2_PKS1_S4_S4_S4_ffiiiiiii,"axG",@progbits,_ZN5aiter23fused_qk_rmsnorm_kernelItLi256ELi32ELb1ELi2EEEvPT_S2_PKS1_S4_S4_S4_ffiiiiiii,comdat
	.protected	_ZN5aiter23fused_qk_rmsnorm_kernelItLi256ELi32ELb1ELi2EEEvPT_S2_PKS1_S4_S4_S4_ffiiiiiii ; -- Begin function _ZN5aiter23fused_qk_rmsnorm_kernelItLi256ELi32ELb1ELi2EEEvPT_S2_PKS1_S4_S4_S4_ffiiiiiii
	.globl	_ZN5aiter23fused_qk_rmsnorm_kernelItLi256ELi32ELb1ELi2EEEvPT_S2_PKS1_S4_S4_S4_ffiiiiiii
	.p2align	8
	.type	_ZN5aiter23fused_qk_rmsnorm_kernelItLi256ELi32ELb1ELi2EEEvPT_S2_PKS1_S4_S4_S4_ffiiiiiii,@function
_ZN5aiter23fused_qk_rmsnorm_kernelItLi256ELi32ELb1ELi2EEEvPT_S2_PKS1_S4_S4_S4_ffiiiiiii: ; @_ZN5aiter23fused_qk_rmsnorm_kernelItLi256ELi32ELb1ELi2EEEvPT_S2_PKS1_S4_S4_S4_ffiiiiiii
; %bb.0:
	s_load_dwordx8 s[8:15], s[4:5], 0x30
	s_mov_b32 s0, s6
	s_mov_b32 s1, 0
	s_lshl_b64 s[16:17], s[0:1], 1
	s_waitcnt lgkmcnt(0)
	s_ashr_i32 s19, s10, 31
	s_mov_b32 s18, s10
	v_pk_mov_b32 v[2:3], s[18:19], s[18:19] op_sel:[0,1]
	v_cmp_ge_i64_e32 vcc, s[16:17], v[2:3]
	s_cbranch_vccnz .LBB22_9
; %bb.1:
	s_load_dwordx8 s[24:31], s[4:5], 0x0
	s_load_dwordx4 s[0:3], s[4:5], 0x20
	s_load_dword s6, s[4:5], 0x50
	s_cmp_eq_u32 s7, 0
	s_cselect_b64 vcc, -1, 0
	s_and_b64 s[4:5], vcc, exec
	v_mov_b32_e32 v2, s8
	s_waitcnt lgkmcnt(0)
	s_cselect_b32 s8, s0, s2
	s_cselect_b32 s2, s13, s14
	;; [unrolled: 1-line block ×9, first 2 shown]
	s_ashr_i32 s3, s2, 31
	s_mul_i32 s0, s16, s3
	s_mul_hi_u32 s1, s16, s2
	s_add_i32 s0, s1, s0
	s_mul_i32 s1, s17, s2
	s_add_i32 s1, s0, s1
	s_mul_i32 s0, s16, s2
	s_lshl_b64 s[0:1], s[0:1], 1
	s_add_u32 s4, s4, s0
	s_addc_u32 s13, s5, s1
	s_add_i32 s0, s12, 1
	s_lshr_b32 s1, s0, 31
	v_mov_b32_e32 v1, s9
	s_add_i32 s0, s0, s1
	v_cndmask_b32_e32 v82, v1, v2, vcc
	s_lshl_b32 s0, s0, 1
	v_lshlrev_b32_e32 v2, 6, v0
	s_and_b32 s10, s0, -4
	v_lshlrev_b32_e32 v1, 4, v0
	v_and_b32_e32 v2, 0xf000, v2
	s_movk_i32 s0, 0x3f0
	s_and_b32 s9, s7, 0xffff
	s_mov_b32 s11, 0x20000
	v_and_or_b32 v83, v1, s0, v2
	s_movk_i32 s25, 0x400
	s_movk_i32 s26, 0x800
	s_movk_i32 s27, 0xc00
	buffer_load_dwordx4 v[10:13], v83, s[8:11], 0 offen
	buffer_load_dwordx4 v[18:21], v83, s[8:11], s25 offen
	;; [unrolled: 1-line block ×4, first 2 shown]
	s_and_b32 s5, s13, 0xffff
	s_mov_b32 s6, s10
	s_mov_b32 s7, s11
	buffer_load_dwordx4 v[26:29], v83, s[4:7], 0 offen glc slc
	buffer_load_dwordx4 v[14:17], v83, s[4:7], s25 offen glc slc
	;; [unrolled: 1-line block ×4, first 2 shown]
	s_mov_b32 s7, s17
	v_pk_mov_b32 v[34:35], s[18:19], s[18:19] op_sel:[0,1]
	v_and_b32_e32 v1, 63, v0
	v_lshrrev_b32_e32 v36, 4, v0
	v_and_b32_e32 v0, 3, v0
	s_or_b32 s6, s16, 1
	v_cmp_eq_u32_e64 s[0:1], 63, v1
	v_and_b32_e32 v84, 60, v36
	v_lshlrev_b32_e32 v85, 2, v0
	v_cvt_f32_i32_e32 v86, s12
	s_lshl_b64 s[8:9], s[2:3], 1
	v_cmp_lt_u64_e64 s[2:3], s[6:7], v[34:35]
	s_add_u32 s12, s4, s8
	s_addc_u32 s4, s13, s9
	s_mov_b64 s[14:15], s[10:11]
	s_ashr_i32 s28, s24, 31
	s_and_b32 s13, s4, 0xffff
	s_mov_b64 s[4:5], 0
	s_mov_b64 s[6:7], -1
	s_mov_b32 s29, 0x800000
	s_mov_b32 s30, 0x7060302
	s_waitcnt vmcnt(7)
	v_cvt_f32_u32_sdwa v1, v10 dst_sel:DWORD dst_unused:UNUSED_PAD src0_sel:WORD_1
	v_cvt_f32_u32_sdwa v0, v10 dst_sel:DWORD dst_unused:UNUSED_PAD src0_sel:WORD_0
	v_cvt_f32_u32_sdwa v35, v11 dst_sel:DWORD dst_unused:UNUSED_PAD src0_sel:WORD_1
	v_cvt_f32_u32_sdwa v34, v11 dst_sel:DWORD dst_unused:UNUSED_PAD src0_sel:WORD_0
	v_cvt_f32_u32_sdwa v37, v12 dst_sel:DWORD dst_unused:UNUSED_PAD src0_sel:WORD_1
	v_cvt_f32_u32_sdwa v36, v12 dst_sel:DWORD dst_unused:UNUSED_PAD src0_sel:WORD_0
	v_cvt_f32_u32_sdwa v39, v13 dst_sel:DWORD dst_unused:UNUSED_PAD src0_sel:WORD_1
	v_cvt_f32_u32_sdwa v38, v13 dst_sel:DWORD dst_unused:UNUSED_PAD src0_sel:WORD_0
	s_waitcnt vmcnt(6)
	v_cvt_f32_u32_sdwa v41, v18 dst_sel:DWORD dst_unused:UNUSED_PAD src0_sel:WORD_1
	v_cvt_f32_u32_sdwa v40, v18 dst_sel:DWORD dst_unused:UNUSED_PAD src0_sel:WORD_0
	v_cvt_f32_u32_sdwa v43, v19 dst_sel:DWORD dst_unused:UNUSED_PAD src0_sel:WORD_1
	v_cvt_f32_u32_sdwa v42, v19 dst_sel:DWORD dst_unused:UNUSED_PAD src0_sel:WORD_0
	v_cvt_f32_u32_sdwa v45, v20 dst_sel:DWORD dst_unused:UNUSED_PAD src0_sel:WORD_1
	v_cvt_f32_u32_sdwa v44, v20 dst_sel:DWORD dst_unused:UNUSED_PAD src0_sel:WORD_0
	v_cvt_f32_u32_sdwa v47, v21 dst_sel:DWORD dst_unused:UNUSED_PAD src0_sel:WORD_1
	v_cvt_f32_u32_sdwa v46, v21 dst_sel:DWORD dst_unused:UNUSED_PAD src0_sel:WORD_0
	;; [unrolled: 9-line block ×4, first 2 shown]
	s_branch .LBB22_4
.LBB22_2:                               ;   in Loop: Header=BB22_4 Depth=1
	s_or_b64 exec, exec, s[20:21]
	s_waitcnt lgkmcnt(0)
	s_barrier
	ds_read_b32 v4, v85
	s_mul_i32 s9, s9, s24
	s_waitcnt lgkmcnt(0)
	v_mov_b32_dpp v5, v4 quad_perm:[1,0,3,2] row_mask:0xf bank_mask:0xf
	v_add_f32_e32 v4, v4, v5
	s_nop 1
	v_mov_b32_dpp v5, v4 quad_perm:[2,3,0,1] row_mask:0xf bank_mask:0xf
	v_add_f32_e32 v4, v4, v5
	v_div_scale_f32 v5, s[20:21], v86, v86, v4
	v_rcp_f32_e32 v87, v5
	v_div_scale_f32 v88, vcc, v4, v86, v4
	s_mul_i32 s20, s8, s28
	v_fma_f32 v89, -v5, v87, 1.0
	v_fmac_f32_e32 v87, v89, v87
	v_mul_f32_e32 v89, v88, v87
	v_fma_f32 v90, -v5, v89, v88
	v_fmac_f32_e32 v89, v90, v87
	v_fma_f32 v5, -v5, v89, v88
	v_div_fmas_f32 v5, v5, v87, v89
	v_div_fixup_f32 v4, v5, v86, v4
	v_add_f32_e32 v4, v82, v4
	v_mul_f32_e32 v5, 0x4b800000, v4
	v_cmp_gt_f32_e32 vcc, s29, v4
	v_cndmask_b32_e32 v4, v4, v5, vcc
	v_rsq_f32_e32 v4, v4
	s_mul_hi_u32 s21, s8, s24
	s_add_i32 s20, s21, s20
	s_add_i32 s9, s20, s9
	v_mul_f32_e32 v5, 0x45800000, v4
	s_mul_i32 s8, s8, s24
	v_cndmask_b32_e32 v4, v4, v5, vcc
	s_lshl_b64 s[8:9], s[8:9], 1
	v_mov_b32_e32 v5, v4
	s_add_u32 s8, s23, s8
	;;#ASMSTART
	v_pk_mul_f32 v[64:65], v[64:65], v[4:5]
	;;#ASMEND
	;;#ASMSTART
	v_pk_mul_f32 v[66:67], v[66:67], v[4:5]
	;;#ASMEND
	;; [unrolled: 3-line block ×16, first 2 shown]
	s_addc_u32 s9, s22, s9
	;;#ASMSTART
	v_pk_mul_f32 v[64:65], v[64:65], v[0:1]
	;;#ASMEND
	;;#ASMSTART
	v_pk_mul_f32 v[66:67], v[66:67], v[34:35]
	;;#ASMEND
	;; [unrolled: 3-line block ×16, first 2 shown]
	s_and_b32 s9, s9, 0xffff
	v_perm_b32 v2, v65, v64, s30
	v_perm_b32 v3, v67, v66, s30
	v_perm_b32 v4, v27, v26, s30
	v_perm_b32 v5, v69, v68, s30
	buffer_store_dwordx4 v[2:5], v83, s[8:11], 0 offen
	;;#ASMSTART
	s_nop 0
	;;#ASMEND
	s_waitcnt vmcnt(4)
	v_mov_b32_e32 v27, v11
	v_perm_b32 v2, v29, v28, s30
	v_perm_b32 v3, v71, v70, s30
	;; [unrolled: 1-line block ×4, first 2 shown]
	buffer_store_dwordx4 v[2:5], v83, s[8:11], s25 offen
	v_perm_b32 v2, v17, v16, s30
	v_perm_b32 v3, v75, v74, s30
	;; [unrolled: 1-line block ×4, first 2 shown]
	;;#ASMSTART
	s_nop 0
	;;#ASMEND
	buffer_store_dwordx4 v[2:5], v83, s[8:11], s26 offen
	v_perm_b32 v2, v9, v8, s30
	v_perm_b32 v3, v79, v78, s30
	;; [unrolled: 1-line block ×4, first 2 shown]
	;;#ASMSTART
	s_nop 0
	;;#ASMEND
	buffer_store_dwordx4 v[2:5], v83, s[8:11], s27 offen
	s_waitcnt vmcnt(4)
	v_mov_b32_e32 v5, v33
	v_mov_b32_e32 v4, v32
	v_mov_b32_e32 v3, v31
	v_mov_b32_e32 v2, v30
	v_mov_b32_e32 v9, v25
	v_mov_b32_e32 v8, v24
	v_mov_b32_e32 v7, v23
	v_mov_b32_e32 v6, v22
	v_mov_b32_e32 v17, v21
	v_mov_b32_e32 v16, v20
	v_mov_b32_e32 v15, v19
	v_mov_b32_e32 v14, v18
	v_mov_b32_e32 v29, v13
	v_mov_b32_e32 v28, v12
	v_mov_b32_e32 v26, v10
	;;#ASMSTART
	s_nop 0
	;;#ASMEND
.LBB22_3:                               ;   in Loop: Header=BB22_4 Depth=1
	s_and_b64 s[8:9], s[4:5], s[6:7]
	s_mov_b64 s[4:5], 1
	s_mov_b64 s[6:7], 0
	s_and_b64 vcc, exec, s[8:9]
	s_cbranch_vccz .LBB22_9
.LBB22_4:                               ; =>This Inner Loop Header: Depth=1
	s_or_b64 s[8:9], s[16:17], s[4:5]
	v_pk_mov_b32 v[10:11], s[18:19], s[18:19] op_sel:[0,1]
	v_cmp_ge_i64_e32 vcc, s[8:9], v[10:11]
	v_cmp_lt_i64_e64 s[4:5], s[8:9], v[10:11]
	s_cbranch_vccnz .LBB22_3
; %bb.5:                                ;   in Loop: Header=BB22_4 Depth=1
	s_and_b64 s[20:21], s[6:7], s[2:3]
	s_andn2_b64 vcc, exec, s[20:21]
	s_waitcnt vmcnt(3)
	v_mov_b32_e32 v10, v26
	v_mov_b32_e32 v11, v27
	v_mov_b32_e32 v12, v28
	v_mov_b32_e32 v13, v29
	s_waitcnt vmcnt(2)
	v_mov_b32_e32 v18, v14
	v_mov_b32_e32 v19, v15
	v_mov_b32_e32 v20, v16
	v_mov_b32_e32 v21, v17
	;; [unrolled: 5-line block ×4, first 2 shown]
	s_cbranch_vccnz .LBB22_7
; %bb.6:                                ;   in Loop: Header=BB22_4 Depth=1
	buffer_load_dwordx4 v[10:13], v83, s[12:15], 0 offen glc slc
	buffer_load_dwordx4 v[18:21], v83, s[12:15], s25 offen glc slc
	;; [unrolled: 1-line block ×4, first 2 shown]
.LBB22_7:                               ;   in Loop: Header=BB22_4 Depth=1
	v_and_b32_e32 v65, 0xffff0000, v26
	v_lshlrev_b32_e32 v64, 16, v26
	v_and_b32_e32 v67, 0xffff0000, v27
	v_lshlrev_b32_e32 v66, 16, v27
	;; [unrolled: 2-line block ×16, first 2 shown]
	v_pk_mul_f32 v[4:5], v[64:65], v[64:65]
	v_pk_mul_f32 v[88:89], v[66:67], v[66:67]
	v_add_f32_e32 v4, v4, v5
	v_add_f32_e32 v4, v4, v88
	v_pk_mul_f32 v[90:91], v[26:27], v[26:27]
	v_add_f32_e32 v4, v4, v89
	v_add_f32_e32 v4, v4, v90
	;; [unrolled: 3-line block ×15, first 2 shown]
	v_add_f32_e32 v4, v4, v117
	s_nop 1
	v_mov_b32_dpp v5, v4 quad_perm:[1,0,3,2] row_mask:0xf bank_mask:0xf
	v_add_f32_e32 v4, v4, v5
	s_nop 1
	v_mov_b32_dpp v5, v4 quad_perm:[2,3,0,1] row_mask:0xf bank_mask:0xf
	v_add_f32_e32 v4, v4, v5
	s_nop 1
	v_mov_b32_dpp v5, v4 row_half_mirror row_mask:0xf bank_mask:0xf
	v_add_f32_e32 v4, v4, v5
	s_nop 1
	v_mov_b32_dpp v5, v4 row_mirror row_mask:0xf bank_mask:0xf
	v_add_f32_e32 v4, v4, v5
	s_nop 1
	v_mov_b32_dpp v5, v4 row_bcast:15 row_mask:0xf bank_mask:0xf
	v_add_f32_e32 v4, v4, v5
	s_nop 1
	v_mov_b32_dpp v5, v4 row_bcast:31 row_mask:0xf bank_mask:0xf
	s_and_saveexec_b64 s[20:21], s[0:1]
	s_cbranch_execz .LBB22_2
; %bb.8:                                ;   in Loop: Header=BB22_4 Depth=1
	v_add_f32_e32 v4, v4, v5
	ds_write_b32 v84, v4
	s_branch .LBB22_2
.LBB22_9:
	s_endpgm
	.section	.rodata,"a",@progbits
	.p2align	6, 0x0
	.amdhsa_kernel _ZN5aiter23fused_qk_rmsnorm_kernelItLi256ELi32ELb1ELi2EEEvPT_S2_PKS1_S4_S4_S4_ffiiiiiii
		.amdhsa_group_segment_fixed_size 16
		.amdhsa_private_segment_fixed_size 0
		.amdhsa_kernarg_size 84
		.amdhsa_user_sgpr_count 6
		.amdhsa_user_sgpr_private_segment_buffer 1
		.amdhsa_user_sgpr_dispatch_ptr 0
		.amdhsa_user_sgpr_queue_ptr 0
		.amdhsa_user_sgpr_kernarg_segment_ptr 1
		.amdhsa_user_sgpr_dispatch_id 0
		.amdhsa_user_sgpr_flat_scratch_init 0
		.amdhsa_user_sgpr_kernarg_preload_length 0
		.amdhsa_user_sgpr_kernarg_preload_offset 0
		.amdhsa_user_sgpr_private_segment_size 0
		.amdhsa_uses_dynamic_stack 0
		.amdhsa_system_sgpr_private_segment_wavefront_offset 0
		.amdhsa_system_sgpr_workgroup_id_x 1
		.amdhsa_system_sgpr_workgroup_id_y 1
		.amdhsa_system_sgpr_workgroup_id_z 0
		.amdhsa_system_sgpr_workgroup_info 0
		.amdhsa_system_vgpr_workitem_id 0
		.amdhsa_next_free_vgpr 118
		.amdhsa_next_free_sgpr 32
		.amdhsa_accum_offset 120
		.amdhsa_reserve_vcc 1
		.amdhsa_reserve_flat_scratch 0
		.amdhsa_float_round_mode_32 0
		.amdhsa_float_round_mode_16_64 0
		.amdhsa_float_denorm_mode_32 3
		.amdhsa_float_denorm_mode_16_64 3
		.amdhsa_dx10_clamp 1
		.amdhsa_ieee_mode 1
		.amdhsa_fp16_overflow 0
		.amdhsa_tg_split 0
		.amdhsa_exception_fp_ieee_invalid_op 0
		.amdhsa_exception_fp_denorm_src 0
		.amdhsa_exception_fp_ieee_div_zero 0
		.amdhsa_exception_fp_ieee_overflow 0
		.amdhsa_exception_fp_ieee_underflow 0
		.amdhsa_exception_fp_ieee_inexact 0
		.amdhsa_exception_int_div_zero 0
	.end_amdhsa_kernel
	.section	.text._ZN5aiter23fused_qk_rmsnorm_kernelItLi256ELi32ELb1ELi2EEEvPT_S2_PKS1_S4_S4_S4_ffiiiiiii,"axG",@progbits,_ZN5aiter23fused_qk_rmsnorm_kernelItLi256ELi32ELb1ELi2EEEvPT_S2_PKS1_S4_S4_S4_ffiiiiiii,comdat
.Lfunc_end22:
	.size	_ZN5aiter23fused_qk_rmsnorm_kernelItLi256ELi32ELb1ELi2EEEvPT_S2_PKS1_S4_S4_S4_ffiiiiiii, .Lfunc_end22-_ZN5aiter23fused_qk_rmsnorm_kernelItLi256ELi32ELb1ELi2EEEvPT_S2_PKS1_S4_S4_S4_ffiiiiiii
                                        ; -- End function
	.section	.AMDGPU.csdata,"",@progbits
; Kernel info:
; codeLenInByte = 2180
; NumSgprs: 36
; NumVgprs: 118
; NumAgprs: 0
; TotalNumVgprs: 118
; ScratchSize: 0
; MemoryBound: 0
; FloatMode: 240
; IeeeMode: 1
; LDSByteSize: 16 bytes/workgroup (compile time only)
; SGPRBlocks: 4
; VGPRBlocks: 14
; NumSGPRsForWavesPerEU: 36
; NumVGPRsForWavesPerEU: 118
; AccumOffset: 120
; Occupancy: 4
; WaveLimiterHint : 0
; COMPUTE_PGM_RSRC2:SCRATCH_EN: 0
; COMPUTE_PGM_RSRC2:USER_SGPR: 6
; COMPUTE_PGM_RSRC2:TRAP_HANDLER: 0
; COMPUTE_PGM_RSRC2:TGID_X_EN: 1
; COMPUTE_PGM_RSRC2:TGID_Y_EN: 1
; COMPUTE_PGM_RSRC2:TGID_Z_EN: 0
; COMPUTE_PGM_RSRC2:TIDIG_COMP_CNT: 0
; COMPUTE_PGM_RSRC3_GFX90A:ACCUM_OFFSET: 29
; COMPUTE_PGM_RSRC3_GFX90A:TG_SPLIT: 0
	.section	.text._ZN5aiter23fused_qk_rmsnorm_kernelIDF16_Li256ELi32ELb1ELi1EEEvPT_S2_PKS1_S4_S4_S4_ffiiiiiii,"axG",@progbits,_ZN5aiter23fused_qk_rmsnorm_kernelIDF16_Li256ELi32ELb1ELi1EEEvPT_S2_PKS1_S4_S4_S4_ffiiiiiii,comdat
	.protected	_ZN5aiter23fused_qk_rmsnorm_kernelIDF16_Li256ELi32ELb1ELi1EEEvPT_S2_PKS1_S4_S4_S4_ffiiiiiii ; -- Begin function _ZN5aiter23fused_qk_rmsnorm_kernelIDF16_Li256ELi32ELb1ELi1EEEvPT_S2_PKS1_S4_S4_S4_ffiiiiiii
	.globl	_ZN5aiter23fused_qk_rmsnorm_kernelIDF16_Li256ELi32ELb1ELi1EEEvPT_S2_PKS1_S4_S4_S4_ffiiiiiii
	.p2align	8
	.type	_ZN5aiter23fused_qk_rmsnorm_kernelIDF16_Li256ELi32ELb1ELi1EEEvPT_S2_PKS1_S4_S4_S4_ffiiiiiii,@function
_ZN5aiter23fused_qk_rmsnorm_kernelIDF16_Li256ELi32ELb1ELi1EEEvPT_S2_PKS1_S4_S4_S4_ffiiiiiii: ; @_ZN5aiter23fused_qk_rmsnorm_kernelIDF16_Li256ELi32ELb1ELi1EEEvPT_S2_PKS1_S4_S4_S4_ffiiiiiii
; %bb.0:
	s_load_dwordx8 s[8:15], s[4:5], 0x30
	s_mov_b32 s0, s7
	s_mov_b32 s7, 0
	s_waitcnt lgkmcnt(0)
	s_ashr_i32 s1, s10, 31
	v_mov_b32_e32 v2, s10
	v_mov_b32_e32 v3, s1
	v_cmp_ge_i64_e32 vcc, s[6:7], v[2:3]
	s_cbranch_vccnz .LBB23_4
; %bb.1:
	s_load_dwordx8 s[16:23], s[4:5], 0x0
	s_load_dwordx4 s[28:31], s[4:5], 0x20
	s_load_dword s24, s[4:5], 0x50
	s_cmp_eq_u32 s0, 0
	s_cselect_b64 vcc, -1, 0
	s_and_b64 s[0:1], vcc, exec
	s_cselect_b32 s2, s13, s14
	s_cselect_b32 s12, s11, s12
	s_waitcnt lgkmcnt(0)
	s_cselect_b32 s1, s21, s23
	s_cselect_b32 s4, s20, s22
	s_cselect_b32 s0, s28, s30
	s_cselect_b32 s5, s29, s31
	s_ashr_i32 s3, s2, 31
	s_mul_i32 s3, s3, s6
	s_mul_hi_u32 s7, s2, s6
	s_add_i32 s3, s7, s3
	s_mul_i32 s2, s2, s6
	s_lshl_b64 s[2:3], s[2:3], 1
	s_add_u32 s20, s4, s2
	s_addc_u32 s1, s1, s3
	s_add_i32 s2, s12, 1
	s_lshr_b32 s3, s2, 31
	s_add_i32 s2, s2, s3
	s_lshl_b32 s2, s2, 1
	v_lshlrev_b32_e32 v2, 6, v0
	s_and_b32 s2, s2, -4
	s_mov_b32 s3, 0x20000
	v_lshlrev_b32_e32 v1, 4, v0
	v_and_b32_e32 v2, 0xf000, v2
	s_movk_i32 s4, 0x3f0
	v_and_or_b32 v1, v1, s4, v2
	s_and_b32 s21, s1, 0xffff
	s_mov_b32 s22, s2
	s_mov_b32 s23, s3
	buffer_load_dwordx4 v[30:33], v1, s[20:23], 0 offen glc slc
	s_movk_i32 s11, 0x400
	s_movk_i32 s10, 0x800
	;; [unrolled: 1-line block ×3, first 2 shown]
	buffer_load_dwordx4 v[18:21], v1, s[20:23], s7 offen glc slc
	buffer_load_dwordx4 v[26:29], v1, s[20:23], s11 offen glc slc
	;; [unrolled: 1-line block ×3, first 2 shown]
	s_and_b32 s1, s5, 0xffff
	buffer_load_dwordx4 v[14:17], v1, s[0:3], 0 offen
	buffer_load_dwordx4 v[10:13], v1, s[0:3], s11 offen
	buffer_load_dwordx4 v[6:9], v1, s[0:3], s10 offen
	buffer_load_dwordx4 v[2:5], v1, s[0:3], s7 offen
	v_and_b32_e32 v58, 63, v0
	v_cmp_eq_u32_e64 s[0:1], 63, v58
	s_waitcnt vmcnt(7)
	v_cvt_f32_f16_e32 v50, v30
	v_cvt_f32_f16_sdwa v51, v30 dst_sel:DWORD dst_unused:UNUSED_PAD src0_sel:WORD_1
	v_cvt_f32_f16_e32 v48, v31
	v_cvt_f32_f16_sdwa v49, v31 dst_sel:DWORD dst_unused:UNUSED_PAD src0_sel:WORD_1
	v_cvt_f32_f16_e32 v46, v32
	v_cvt_f32_f16_sdwa v47, v32 dst_sel:DWORD dst_unused:UNUSED_PAD src0_sel:WORD_1
	v_cvt_f32_f16_e32 v44, v33
	v_cvt_f32_f16_sdwa v45, v33 dst_sel:DWORD dst_unused:UNUSED_PAD src0_sel:WORD_1
	s_waitcnt vmcnt(5)
	v_cvt_f32_f16_e32 v42, v26
	v_cvt_f32_f16_sdwa v43, v26 dst_sel:DWORD dst_unused:UNUSED_PAD src0_sel:WORD_1
	v_cvt_f32_f16_e32 v40, v27
	v_cvt_f32_f16_sdwa v41, v27 dst_sel:DWORD dst_unused:UNUSED_PAD src0_sel:WORD_1
	v_cvt_f32_f16_e32 v38, v28
	v_cvt_f32_f16_sdwa v39, v28 dst_sel:DWORD dst_unused:UNUSED_PAD src0_sel:WORD_1
	v_cvt_f32_f16_e32 v36, v29
	v_cvt_f32_f16_sdwa v37, v29 dst_sel:DWORD dst_unused:UNUSED_PAD src0_sel:WORD_1
	;; [unrolled: 9-line block ×3, first 2 shown]
	v_cvt_f32_f16_e32 v26, v18
	v_cvt_f32_f16_sdwa v27, v18 dst_sel:DWORD dst_unused:UNUSED_PAD src0_sel:WORD_1
	v_cvt_f32_f16_e32 v24, v19
	v_cvt_f32_f16_sdwa v25, v19 dst_sel:DWORD dst_unused:UNUSED_PAD src0_sel:WORD_1
	;; [unrolled: 2-line block ×4, first 2 shown]
	v_pk_mul_f32 v[20:21], v[50:51], v[50:51]
	v_pk_mul_f32 v[52:53], v[48:49], v[48:49]
	v_add_f32_e32 v59, v20, v21
	v_add_f32_e32 v52, v59, v52
	v_pk_mul_f32 v[54:55], v[46:47], v[46:47]
	v_add_f32_e32 v59, v52, v53
	v_add_f32_e32 v54, v59, v54
	v_pk_mul_f32 v[56:57], v[44:45], v[44:45]
	v_add_f32_e32 v59, v54, v55
	v_add_f32_e32 v56, v59, v56
	v_pk_mul_f32 v[20:21], v[42:43], v[42:43]
	v_add_f32_e32 v59, v56, v57
	v_add_f32_e32 v20, v59, v20
	v_pk_mul_f32 v[52:53], v[40:41], v[40:41]
	v_add_f32_e32 v59, v20, v21
	v_add_f32_e32 v52, v59, v52
	v_pk_mul_f32 v[54:55], v[38:39], v[38:39]
	v_add_f32_e32 v59, v52, v53
	v_add_f32_e32 v54, v59, v54
	v_pk_mul_f32 v[56:57], v[36:37], v[36:37]
	v_add_f32_e32 v59, v54, v55
	v_add_f32_e32 v56, v59, v56
	v_pk_mul_f32 v[20:21], v[34:35], v[34:35]
	v_add_f32_e32 v59, v56, v57
	v_add_f32_e32 v20, v59, v20
	v_pk_mul_f32 v[52:53], v[32:33], v[32:33]
	v_add_f32_e32 v59, v20, v21
	v_add_f32_e32 v52, v59, v52
	v_pk_mul_f32 v[54:55], v[30:31], v[30:31]
	v_add_f32_e32 v59, v52, v53
	v_add_f32_e32 v54, v59, v54
	v_pk_mul_f32 v[56:57], v[28:29], v[28:29]
	v_add_f32_e32 v59, v54, v55
	v_add_f32_e32 v56, v59, v56
	v_pk_mul_f32 v[20:21], v[26:27], v[26:27]
	v_add_f32_e32 v59, v56, v57
	v_add_f32_e32 v20, v59, v20
	v_pk_mul_f32 v[52:53], v[24:25], v[24:25]
	v_add_f32_e32 v20, v20, v21
	v_add_f32_e32 v20, v20, v52
	v_pk_mul_f32 v[54:55], v[22:23], v[22:23]
	v_add_f32_e32 v20, v20, v53
	v_add_f32_e32 v20, v20, v54
	v_pk_mul_f32 v[56:57], v[18:19], v[18:19]
	v_add_f32_e32 v20, v20, v55
	v_add_f32_e32 v20, v20, v56
	v_add_f32_e32 v20, v20, v57
	s_nop 1
	v_mov_b32_dpp v21, v20 quad_perm:[1,0,3,2] row_mask:0xf bank_mask:0xf
	v_add_f32_e32 v20, v20, v21
	s_nop 1
	v_mov_b32_dpp v21, v20 quad_perm:[2,3,0,1] row_mask:0xf bank_mask:0xf
	v_add_f32_e32 v20, v20, v21
	s_nop 1
	v_mov_b32_dpp v21, v20 row_half_mirror row_mask:0xf bank_mask:0xf
	v_add_f32_e32 v20, v20, v21
	s_nop 1
	v_mov_b32_dpp v21, v20 row_mirror row_mask:0xf bank_mask:0xf
	v_add_f32_e32 v20, v20, v21
	s_nop 1
	v_mov_b32_dpp v21, v20 row_bcast:15 row_mask:0xf bank_mask:0xf
	v_add_f32_e32 v20, v20, v21
	s_nop 1
	v_mov_b32_dpp v21, v20 row_bcast:31 row_mask:0xf bank_mask:0xf
	s_and_saveexec_b64 s[4:5], s[0:1]
	s_cbranch_execz .LBB23_3
; %bb.2:
	v_add_f32_e32 v20, v20, v21
	v_lshrrev_b32_e32 v21, 4, v0
	v_and_b32_e32 v21, 60, v21
	ds_write_b32 v21, v20
.LBB23_3:
	s_or_b64 exec, exec, s[4:5]
	v_and_b32_e32 v0, 3, v0
	v_lshlrev_b32_e32 v0, 2, v0
	s_waitcnt lgkmcnt(0)
	s_barrier
	ds_read_b32 v0, v0
	v_mov_b32_e32 v53, s9
	v_mov_b32_e32 v54, s8
	v_cndmask_b32_e32 v53, v53, v54, vcc
	s_and_b64 s[0:1], vcc, exec
	s_waitcnt lgkmcnt(0)
	v_mov_b32_dpp v20, v0 quad_perm:[1,0,3,2] row_mask:0xf bank_mask:0xf
	v_add_f32_e32 v0, v0, v20
	v_cvt_f32_i32_e32 v20, s12
	s_cselect_b32 s4, s17, s19
	v_mov_b32_dpp v21, v0 quad_perm:[2,3,0,1] row_mask:0xf bank_mask:0xf
	v_add_f32_e32 v0, v0, v21
	v_div_scale_f32 v21, s[0:1], v20, v20, v0
	v_rcp_f32_e32 v52, v21
	s_mov_b32 s0, 0x800000
	s_cselect_b32 s5, s16, s18
	v_fma_f32 v54, -v21, v52, 1.0
	v_fmac_f32_e32 v52, v54, v52
	v_div_scale_f32 v54, vcc, v0, v20, v0
	v_mul_f32_e32 v55, v54, v52
	v_fma_f32 v56, -v21, v55, v54
	v_fmac_f32_e32 v55, v56, v52
	v_fma_f32 v21, -v21, v55, v54
	v_div_fmas_f32 v21, v21, v52, v55
	v_div_fixup_f32 v0, v21, v20, v0
	v_add_f32_e32 v0, v53, v0
	v_mul_f32_e32 v20, 0x4b800000, v0
	v_cmp_gt_f32_e32 vcc, s0, v0
	v_cndmask_b32_e32 v0, v0, v20, vcc
	v_rsq_f32_e32 v0, v0
	s_waitcnt vmcnt(3)
	v_cvt_f32_f16_sdwa v53, v15 dst_sel:DWORD dst_unused:UNUSED_PAD src0_sel:WORD_1
	v_cvt_f32_f16_e32 v52, v15
	v_cvt_f32_f16_sdwa v15, v16 dst_sel:DWORD dst_unused:UNUSED_PAD src0_sel:WORD_1
	v_mul_f32_e32 v20, 0x45800000, v0
	v_cndmask_b32_e32 v20, v0, v20, vcc
	v_mov_b32_e32 v21, v20
	;;#ASMSTART
	v_pk_mul_f32 v[50:51], v[50:51], v[20:21]
	;;#ASMEND
	;;#ASMSTART
	v_pk_mul_f32 v[48:49], v[48:49], v[20:21]
	;;#ASMEND
	;; [unrolled: 3-line block ×16, first 2 shown]
	v_cvt_f32_f16_sdwa v21, v14 dst_sel:DWORD dst_unused:UNUSED_PAD src0_sel:WORD_1
	v_cvt_f32_f16_e32 v20, v14
	v_cvt_f32_f16_e32 v14, v16
	s_cselect_b32 s0, s15, s24
	v_cvt_f32_f16_sdwa v55, v17 dst_sel:DWORD dst_unused:UNUSED_PAD src0_sel:WORD_1
	v_cvt_f32_f16_e32 v54, v17
	;;#ASMSTART
	v_pk_mul_f32 v[16:17], v[50:51], v[20:21]
	;;#ASMEND
	;;#ASMSTART
	v_pk_mul_f32 v[20:21], v[48:49], v[52:53]
	;;#ASMEND
	;; [unrolled: 3-line block ×3, first 2 shown]
	s_waitcnt vmcnt(2)
	v_cvt_f32_f16_sdwa v47, v10 dst_sel:DWORD dst_unused:UNUSED_PAD src0_sel:WORD_1
	v_cvt_f32_f16_e32 v46, v10
	v_cvt_f32_f16_sdwa v49, v11 dst_sel:DWORD dst_unused:UNUSED_PAD src0_sel:WORD_1
	v_cvt_f32_f16_e32 v48, v11
	;; [unrolled: 2-line block ×3, first 2 shown]
	;;#ASMSTART
	v_pk_mul_f32 v[44:45], v[44:45], v[54:55]
	;;#ASMEND
	v_cvt_f32_f16_sdwa v51, v13 dst_sel:DWORD dst_unused:UNUSED_PAD src0_sel:WORD_1
	v_cvt_f32_f16_e32 v50, v13
	;;#ASMSTART
	v_pk_mul_f32 v[12:13], v[42:43], v[46:47]
	;;#ASMEND
	;;#ASMSTART
	v_pk_mul_f32 v[40:41], v[40:41], v[48:49]
	;;#ASMEND
	;; [unrolled: 3-line block ×3, first 2 shown]
	s_waitcnt vmcnt(1)
	v_cvt_f32_f16_sdwa v39, v6 dst_sel:DWORD dst_unused:UNUSED_PAD src0_sel:WORD_1
	v_cvt_f32_f16_e32 v38, v6
	v_cvt_f32_f16_sdwa v43, v7 dst_sel:DWORD dst_unused:UNUSED_PAD src0_sel:WORD_1
	v_cvt_f32_f16_e32 v42, v7
	;; [unrolled: 2-line block ×3, first 2 shown]
	s_ashr_i32 s1, s0, 31
	;;#ASMSTART
	v_pk_mul_f32 v[36:37], v[36:37], v[50:51]
	;;#ASMEND
	v_cvt_f32_f16_sdwa v47, v9 dst_sel:DWORD dst_unused:UNUSED_PAD src0_sel:WORD_1
	v_cvt_f32_f16_e32 v46, v9
	;;#ASMSTART
	v_pk_mul_f32 v[8:9], v[34:35], v[38:39]
	;;#ASMEND
	;;#ASMSTART
	v_pk_mul_f32 v[32:33], v[32:33], v[42:43]
	;;#ASMEND
	;; [unrolled: 3-line block ×3, first 2 shown]
	s_waitcnt vmcnt(0)
	v_cvt_f32_f16_sdwa v31, v2 dst_sel:DWORD dst_unused:UNUSED_PAD src0_sel:WORD_1
	v_cvt_f32_f16_e32 v30, v2
	v_cvt_f32_f16_sdwa v35, v3 dst_sel:DWORD dst_unused:UNUSED_PAD src0_sel:WORD_1
	v_cvt_f32_f16_e32 v34, v3
	;; [unrolled: 2-line block ×3, first 2 shown]
	s_mul_i32 s1, s1, s6
	s_mul_hi_u32 s8, s0, s6
	;;#ASMSTART
	v_pk_mul_f32 v[28:29], v[28:29], v[46:47]
	;;#ASMEND
	v_cvt_f32_f16_sdwa v39, v5 dst_sel:DWORD dst_unused:UNUSED_PAD src0_sel:WORD_1
	v_cvt_f32_f16_e32 v38, v5
	;;#ASMSTART
	v_pk_mul_f32 v[26:27], v[26:27], v[30:31]
	;;#ASMEND
	;;#ASMSTART
	v_pk_mul_f32 v[24:25], v[24:25], v[34:35]
	;;#ASMEND
	;;#ASMSTART
	v_pk_mul_f32 v[22:23], v[22:23], v[2:3]
	;;#ASMEND
	s_add_i32 s1, s8, s1
	s_mul_i32 s0, s0, s6
	v_cvt_f16_f32_e32 v0, v16
	v_cvt_f16_f32_e32 v2, v17
	;; [unrolled: 1-line block ×8, first 2 shown]
	s_lshl_b64 s[0:1], s[0:1], 1
	s_add_u32 s0, s5, s0
	s_addc_u32 s1, s4, s1
	s_and_b32 s1, s1, 0xffff
	v_pack_b32_f16 v2, v0, v2
	v_pack_b32_f16 v3, v3, v4
	;; [unrolled: 1-line block ×4, first 2 shown]
	;;#ASMSTART
	v_pk_mul_f32 v[18:19], v[18:19], v[38:39]
	;;#ASMEND
	buffer_store_dwordx4 v[2:5], v1, s[0:3], 0 offen
	v_cvt_f16_f32_e32 v0, v12
	v_cvt_f16_f32_e32 v2, v13
	v_cvt_f16_f32_e32 v3, v40
	v_cvt_f16_f32_e32 v4, v41
	v_cvt_f16_f32_e32 v5, v10
	v_cvt_f16_f32_e32 v10, v11
	v_cvt_f16_f32_e32 v11, v36
	v_cvt_f16_f32_e32 v12, v37
	v_pack_b32_f16 v2, v0, v2
	v_pack_b32_f16 v3, v3, v4
	v_pack_b32_f16 v4, v5, v10
	v_pack_b32_f16 v5, v11, v12
	;;#ASMSTART
	s_nop 0
	;;#ASMEND
	buffer_store_dwordx4 v[2:5], v1, s[0:3], s11 offen
	v_cvt_f16_f32_e32 v0, v8
	v_cvt_f16_f32_e32 v2, v9
	v_cvt_f16_f32_e32 v3, v32
	v_cvt_f16_f32_e32 v4, v33
	v_cvt_f16_f32_e32 v5, v6
	v_cvt_f16_f32_e32 v6, v7
	v_cvt_f16_f32_e32 v7, v28
	v_cvt_f16_f32_e32 v8, v29
	v_pack_b32_f16 v2, v0, v2
	v_pack_b32_f16 v3, v3, v4
	v_pack_b32_f16 v4, v5, v6
	v_pack_b32_f16 v5, v7, v8
	;;#ASMSTART
	s_nop 0
	;; [unrolled: 16-line block ×3, first 2 shown]
	;;#ASMEND
	buffer_store_dwordx4 v[2:5], v1, s[0:3], s7 offen
	;;#ASMSTART
	s_nop 0
	;;#ASMEND
.LBB23_4:
	s_endpgm
	.section	.rodata,"a",@progbits
	.p2align	6, 0x0
	.amdhsa_kernel _ZN5aiter23fused_qk_rmsnorm_kernelIDF16_Li256ELi32ELb1ELi1EEEvPT_S2_PKS1_S4_S4_S4_ffiiiiiii
		.amdhsa_group_segment_fixed_size 16
		.amdhsa_private_segment_fixed_size 0
		.amdhsa_kernarg_size 84
		.amdhsa_user_sgpr_count 6
		.amdhsa_user_sgpr_private_segment_buffer 1
		.amdhsa_user_sgpr_dispatch_ptr 0
		.amdhsa_user_sgpr_queue_ptr 0
		.amdhsa_user_sgpr_kernarg_segment_ptr 1
		.amdhsa_user_sgpr_dispatch_id 0
		.amdhsa_user_sgpr_flat_scratch_init 0
		.amdhsa_user_sgpr_kernarg_preload_length 0
		.amdhsa_user_sgpr_kernarg_preload_offset 0
		.amdhsa_user_sgpr_private_segment_size 0
		.amdhsa_uses_dynamic_stack 0
		.amdhsa_system_sgpr_private_segment_wavefront_offset 0
		.amdhsa_system_sgpr_workgroup_id_x 1
		.amdhsa_system_sgpr_workgroup_id_y 1
		.amdhsa_system_sgpr_workgroup_id_z 0
		.amdhsa_system_sgpr_workgroup_info 0
		.amdhsa_system_vgpr_workitem_id 0
		.amdhsa_next_free_vgpr 60
		.amdhsa_next_free_sgpr 32
		.amdhsa_accum_offset 60
		.amdhsa_reserve_vcc 1
		.amdhsa_reserve_flat_scratch 0
		.amdhsa_float_round_mode_32 0
		.amdhsa_float_round_mode_16_64 0
		.amdhsa_float_denorm_mode_32 3
		.amdhsa_float_denorm_mode_16_64 3
		.amdhsa_dx10_clamp 1
		.amdhsa_ieee_mode 1
		.amdhsa_fp16_overflow 0
		.amdhsa_tg_split 0
		.amdhsa_exception_fp_ieee_invalid_op 0
		.amdhsa_exception_fp_denorm_src 0
		.amdhsa_exception_fp_ieee_div_zero 0
		.amdhsa_exception_fp_ieee_overflow 0
		.amdhsa_exception_fp_ieee_underflow 0
		.amdhsa_exception_fp_ieee_inexact 0
		.amdhsa_exception_int_div_zero 0
	.end_amdhsa_kernel
	.section	.text._ZN5aiter23fused_qk_rmsnorm_kernelIDF16_Li256ELi32ELb1ELi1EEEvPT_S2_PKS1_S4_S4_S4_ffiiiiiii,"axG",@progbits,_ZN5aiter23fused_qk_rmsnorm_kernelIDF16_Li256ELi32ELb1ELi1EEEvPT_S2_PKS1_S4_S4_S4_ffiiiiiii,comdat
.Lfunc_end23:
	.size	_ZN5aiter23fused_qk_rmsnorm_kernelIDF16_Li256ELi32ELb1ELi1EEEvPT_S2_PKS1_S4_S4_S4_ffiiiiiii, .Lfunc_end23-_ZN5aiter23fused_qk_rmsnorm_kernelIDF16_Li256ELi32ELb1ELi1EEEvPT_S2_PKS1_S4_S4_S4_ffiiiiiii
                                        ; -- End function
	.section	.AMDGPU.csdata,"",@progbits
; Kernel info:
; codeLenInByte = 1916
; NumSgprs: 36
; NumVgprs: 60
; NumAgprs: 0
; TotalNumVgprs: 60
; ScratchSize: 0
; MemoryBound: 0
; FloatMode: 240
; IeeeMode: 1
; LDSByteSize: 16 bytes/workgroup (compile time only)
; SGPRBlocks: 4
; VGPRBlocks: 7
; NumSGPRsForWavesPerEU: 36
; NumVGPRsForWavesPerEU: 60
; AccumOffset: 60
; Occupancy: 8
; WaveLimiterHint : 0
; COMPUTE_PGM_RSRC2:SCRATCH_EN: 0
; COMPUTE_PGM_RSRC2:USER_SGPR: 6
; COMPUTE_PGM_RSRC2:TRAP_HANDLER: 0
; COMPUTE_PGM_RSRC2:TGID_X_EN: 1
; COMPUTE_PGM_RSRC2:TGID_Y_EN: 1
; COMPUTE_PGM_RSRC2:TGID_Z_EN: 0
; COMPUTE_PGM_RSRC2:TIDIG_COMP_CNT: 0
; COMPUTE_PGM_RSRC3_GFX90A:ACCUM_OFFSET: 14
; COMPUTE_PGM_RSRC3_GFX90A:TG_SPLIT: 0
	.section	.text._ZN5aiter23fused_qk_rmsnorm_kernelItLi256ELi32ELb1ELi1EEEvPT_S2_PKS1_S4_S4_S4_ffiiiiiii,"axG",@progbits,_ZN5aiter23fused_qk_rmsnorm_kernelItLi256ELi32ELb1ELi1EEEvPT_S2_PKS1_S4_S4_S4_ffiiiiiii,comdat
	.protected	_ZN5aiter23fused_qk_rmsnorm_kernelItLi256ELi32ELb1ELi1EEEvPT_S2_PKS1_S4_S4_S4_ffiiiiiii ; -- Begin function _ZN5aiter23fused_qk_rmsnorm_kernelItLi256ELi32ELb1ELi1EEEvPT_S2_PKS1_S4_S4_S4_ffiiiiiii
	.globl	_ZN5aiter23fused_qk_rmsnorm_kernelItLi256ELi32ELb1ELi1EEEvPT_S2_PKS1_S4_S4_S4_ffiiiiiii
	.p2align	8
	.type	_ZN5aiter23fused_qk_rmsnorm_kernelItLi256ELi32ELb1ELi1EEEvPT_S2_PKS1_S4_S4_S4_ffiiiiiii,@function
_ZN5aiter23fused_qk_rmsnorm_kernelItLi256ELi32ELb1ELi1EEEvPT_S2_PKS1_S4_S4_S4_ffiiiiiii: ; @_ZN5aiter23fused_qk_rmsnorm_kernelItLi256ELi32ELb1ELi1EEEvPT_S2_PKS1_S4_S4_S4_ffiiiiiii
; %bb.0:
	s_load_dwordx8 s[8:15], s[4:5], 0x30
	s_mov_b32 s0, s7
	s_mov_b32 s7, 0
	s_waitcnt lgkmcnt(0)
	s_ashr_i32 s1, s10, 31
	v_mov_b32_e32 v2, s10
	v_mov_b32_e32 v3, s1
	v_cmp_ge_i64_e32 vcc, s[6:7], v[2:3]
	s_cbranch_vccnz .LBB24_4
; %bb.1:
	s_load_dwordx8 s[16:23], s[4:5], 0x0
	s_load_dwordx4 s[28:31], s[4:5], 0x20
	s_load_dword s24, s[4:5], 0x50
	s_cmp_eq_u32 s0, 0
	s_cselect_b64 vcc, -1, 0
	s_and_b64 s[0:1], vcc, exec
	s_cselect_b32 s2, s13, s14
	s_cselect_b32 s12, s11, s12
	s_waitcnt lgkmcnt(0)
	s_cselect_b32 s1, s21, s23
	s_cselect_b32 s4, s20, s22
	;; [unrolled: 1-line block ×4, first 2 shown]
	s_ashr_i32 s3, s2, 31
	s_mul_i32 s3, s3, s6
	s_mul_hi_u32 s7, s2, s6
	s_add_i32 s3, s7, s3
	s_mul_i32 s2, s2, s6
	s_lshl_b64 s[2:3], s[2:3], 1
	s_add_u32 s20, s4, s2
	s_addc_u32 s1, s1, s3
	s_add_i32 s2, s12, 1
	s_lshr_b32 s3, s2, 31
	s_add_i32 s2, s2, s3
	s_lshl_b32 s2, s2, 1
	v_lshlrev_b32_e32 v2, 6, v0
	s_and_b32 s2, s2, -4
	s_mov_b32 s3, 0x20000
	v_lshlrev_b32_e32 v1, 4, v0
	v_and_b32_e32 v2, 0xf000, v2
	s_movk_i32 s4, 0x3f0
	v_and_or_b32 v1, v1, s4, v2
	s_and_b32 s21, s1, 0xffff
	s_mov_b32 s22, s2
	s_mov_b32 s23, s3
	buffer_load_dwordx4 v[30:33], v1, s[20:23], 0 offen glc slc
	s_movk_i32 s11, 0x400
	s_movk_i32 s10, 0x800
	;; [unrolled: 1-line block ×3, first 2 shown]
	buffer_load_dwordx4 v[18:21], v1, s[20:23], s7 offen glc slc
	buffer_load_dwordx4 v[26:29], v1, s[20:23], s11 offen glc slc
	;; [unrolled: 1-line block ×3, first 2 shown]
	s_and_b32 s1, s5, 0xffff
	buffer_load_dwordx4 v[14:17], v1, s[0:3], 0 offen
	buffer_load_dwordx4 v[10:13], v1, s[0:3], s11 offen
	;; [unrolled: 1-line block ×4, first 2 shown]
	v_and_b32_e32 v58, 63, v0
	v_cmp_eq_u32_e64 s[0:1], 63, v58
	s_waitcnt vmcnt(7)
	v_and_b32_e32 v51, 0xffff0000, v30
	v_lshlrev_b32_e32 v50, 16, v30
	v_and_b32_e32 v49, 0xffff0000, v31
	v_lshlrev_b32_e32 v48, 16, v31
	v_and_b32_e32 v47, 0xffff0000, v32
	v_lshlrev_b32_e32 v46, 16, v32
	v_and_b32_e32 v45, 0xffff0000, v33
	v_lshlrev_b32_e32 v44, 16, v33
	s_waitcnt vmcnt(5)
	v_and_b32_e32 v43, 0xffff0000, v26
	v_lshlrev_b32_e32 v42, 16, v26
	v_and_b32_e32 v41, 0xffff0000, v27
	v_lshlrev_b32_e32 v40, 16, v27
	v_and_b32_e32 v39, 0xffff0000, v28
	v_lshlrev_b32_e32 v38, 16, v28
	v_and_b32_e32 v37, 0xffff0000, v29
	v_lshlrev_b32_e32 v36, 16, v29
	;; [unrolled: 9-line block ×3, first 2 shown]
	v_and_b32_e32 v27, 0xffff0000, v18
	v_lshlrev_b32_e32 v26, 16, v18
	v_and_b32_e32 v25, 0xffff0000, v19
	v_lshlrev_b32_e32 v24, 16, v19
	;; [unrolled: 2-line block ×4, first 2 shown]
	v_pk_mul_f32 v[20:21], v[50:51], v[50:51]
	v_pk_mul_f32 v[52:53], v[48:49], v[48:49]
	v_add_f32_e32 v59, v20, v21
	v_add_f32_e32 v52, v59, v52
	v_pk_mul_f32 v[54:55], v[46:47], v[46:47]
	v_add_f32_e32 v59, v52, v53
	v_add_f32_e32 v54, v59, v54
	v_pk_mul_f32 v[56:57], v[44:45], v[44:45]
	v_add_f32_e32 v59, v54, v55
	v_add_f32_e32 v56, v59, v56
	v_pk_mul_f32 v[20:21], v[42:43], v[42:43]
	v_add_f32_e32 v59, v56, v57
	v_add_f32_e32 v20, v59, v20
	v_pk_mul_f32 v[52:53], v[40:41], v[40:41]
	v_add_f32_e32 v59, v20, v21
	v_add_f32_e32 v52, v59, v52
	v_pk_mul_f32 v[54:55], v[38:39], v[38:39]
	v_add_f32_e32 v59, v52, v53
	v_add_f32_e32 v54, v59, v54
	v_pk_mul_f32 v[56:57], v[36:37], v[36:37]
	v_add_f32_e32 v59, v54, v55
	v_add_f32_e32 v56, v59, v56
	v_pk_mul_f32 v[20:21], v[34:35], v[34:35]
	v_add_f32_e32 v59, v56, v57
	v_add_f32_e32 v20, v59, v20
	v_pk_mul_f32 v[52:53], v[32:33], v[32:33]
	v_add_f32_e32 v59, v20, v21
	v_add_f32_e32 v52, v59, v52
	v_pk_mul_f32 v[54:55], v[30:31], v[30:31]
	v_add_f32_e32 v59, v52, v53
	v_add_f32_e32 v54, v59, v54
	v_pk_mul_f32 v[56:57], v[28:29], v[28:29]
	v_add_f32_e32 v59, v54, v55
	v_add_f32_e32 v56, v59, v56
	v_pk_mul_f32 v[20:21], v[26:27], v[26:27]
	v_add_f32_e32 v59, v56, v57
	v_add_f32_e32 v20, v59, v20
	v_pk_mul_f32 v[52:53], v[24:25], v[24:25]
	v_add_f32_e32 v20, v20, v21
	v_add_f32_e32 v20, v20, v52
	v_pk_mul_f32 v[54:55], v[22:23], v[22:23]
	v_add_f32_e32 v20, v20, v53
	v_add_f32_e32 v20, v20, v54
	v_pk_mul_f32 v[56:57], v[18:19], v[18:19]
	v_add_f32_e32 v20, v20, v55
	v_add_f32_e32 v20, v20, v56
	v_add_f32_e32 v20, v20, v57
	s_nop 1
	v_mov_b32_dpp v21, v20 quad_perm:[1,0,3,2] row_mask:0xf bank_mask:0xf
	v_add_f32_e32 v20, v20, v21
	s_nop 1
	v_mov_b32_dpp v21, v20 quad_perm:[2,3,0,1] row_mask:0xf bank_mask:0xf
	v_add_f32_e32 v20, v20, v21
	s_nop 1
	v_mov_b32_dpp v21, v20 row_half_mirror row_mask:0xf bank_mask:0xf
	v_add_f32_e32 v20, v20, v21
	s_nop 1
	v_mov_b32_dpp v21, v20 row_mirror row_mask:0xf bank_mask:0xf
	v_add_f32_e32 v20, v20, v21
	s_nop 1
	v_mov_b32_dpp v21, v20 row_bcast:15 row_mask:0xf bank_mask:0xf
	v_add_f32_e32 v20, v20, v21
	s_nop 1
	v_mov_b32_dpp v21, v20 row_bcast:31 row_mask:0xf bank_mask:0xf
	s_and_saveexec_b64 s[4:5], s[0:1]
	s_cbranch_execz .LBB24_3
; %bb.2:
	v_add_f32_e32 v20, v20, v21
	v_lshrrev_b32_e32 v21, 4, v0
	v_and_b32_e32 v21, 60, v21
	ds_write_b32 v21, v20
.LBB24_3:
	s_or_b64 exec, exec, s[4:5]
	v_and_b32_e32 v0, 3, v0
	v_lshlrev_b32_e32 v0, 2, v0
	s_waitcnt lgkmcnt(0)
	s_barrier
	ds_read_b32 v0, v0
	v_mov_b32_e32 v53, s9
	v_mov_b32_e32 v54, s8
	v_cndmask_b32_e32 v53, v53, v54, vcc
	s_and_b64 s[0:1], vcc, exec
	s_waitcnt lgkmcnt(0)
	v_mov_b32_dpp v20, v0 quad_perm:[1,0,3,2] row_mask:0xf bank_mask:0xf
	v_add_f32_e32 v0, v0, v20
	v_cvt_f32_i32_e32 v20, s12
	s_cselect_b32 s4, s17, s19
	v_mov_b32_dpp v21, v0 quad_perm:[2,3,0,1] row_mask:0xf bank_mask:0xf
	v_add_f32_e32 v0, v0, v21
	v_div_scale_f32 v21, s[0:1], v20, v20, v0
	v_rcp_f32_e32 v52, v21
	s_mov_b32 s0, 0x800000
	s_cselect_b32 s5, s16, s18
	v_fma_f32 v54, -v21, v52, 1.0
	v_fmac_f32_e32 v52, v54, v52
	v_div_scale_f32 v54, vcc, v0, v20, v0
	v_mul_f32_e32 v55, v54, v52
	v_fma_f32 v56, -v21, v55, v54
	v_fmac_f32_e32 v55, v56, v52
	v_fma_f32 v21, -v21, v55, v54
	v_div_fmas_f32 v21, v21, v52, v55
	v_div_fixup_f32 v0, v21, v20, v0
	v_add_f32_e32 v0, v53, v0
	v_mul_f32_e32 v20, 0x4b800000, v0
	v_cmp_gt_f32_e32 vcc, s0, v0
	v_cndmask_b32_e32 v0, v0, v20, vcc
	v_rsq_f32_e32 v0, v0
	s_cselect_b32 s0, s15, s24
	s_ashr_i32 s1, s0, 31
	s_mul_i32 s1, s1, s6
	v_mul_f32_e32 v20, 0x45800000, v0
	v_cndmask_b32_e32 v20, v0, v20, vcc
	v_mov_b32_e32 v21, v20
	s_mul_hi_u32 s8, s0, s6
	;;#ASMSTART
	v_pk_mul_f32 v[50:51], v[50:51], v[20:21]
	;;#ASMEND
	;;#ASMSTART
	v_pk_mul_f32 v[48:49], v[48:49], v[20:21]
	;;#ASMEND
	;; [unrolled: 3-line block ×16, first 2 shown]
	s_waitcnt vmcnt(3)
	v_cvt_f32_u32_sdwa v21, v14 dst_sel:DWORD dst_unused:UNUSED_PAD src0_sel:WORD_1
	v_cvt_f32_u32_sdwa v20, v14 dst_sel:DWORD dst_unused:UNUSED_PAD src0_sel:WORD_0
	v_cvt_f32_u32_sdwa v53, v15 dst_sel:DWORD dst_unused:UNUSED_PAD src0_sel:WORD_1
	v_cvt_f32_u32_sdwa v52, v15 dst_sel:DWORD dst_unused:UNUSED_PAD src0_sel:WORD_0
	;; [unrolled: 2-line block ×3, first 2 shown]
	s_add_i32 s1, s8, s1
	s_mul_i32 s0, s0, s6
	v_cvt_f32_u32_sdwa v55, v17 dst_sel:DWORD dst_unused:UNUSED_PAD src0_sel:WORD_1
	v_cvt_f32_u32_sdwa v54, v17 dst_sel:DWORD dst_unused:UNUSED_PAD src0_sel:WORD_0
	;;#ASMSTART
	v_pk_mul_f32 v[16:17], v[50:51], v[20:21]
	;;#ASMEND
	;;#ASMSTART
	v_pk_mul_f32 v[20:21], v[48:49], v[52:53]
	;;#ASMEND
	;; [unrolled: 3-line block ×3, first 2 shown]
	s_waitcnt vmcnt(2)
	v_cvt_f32_u32_sdwa v47, v10 dst_sel:DWORD dst_unused:UNUSED_PAD src0_sel:WORD_1
	v_cvt_f32_u32_sdwa v46, v10 dst_sel:DWORD dst_unused:UNUSED_PAD src0_sel:WORD_0
	v_cvt_f32_u32_sdwa v49, v11 dst_sel:DWORD dst_unused:UNUSED_PAD src0_sel:WORD_1
	v_cvt_f32_u32_sdwa v48, v11 dst_sel:DWORD dst_unused:UNUSED_PAD src0_sel:WORD_0
	;; [unrolled: 2-line block ×3, first 2 shown]
	s_lshl_b64 s[0:1], s[0:1], 1
	;;#ASMSTART
	v_pk_mul_f32 v[44:45], v[44:45], v[54:55]
	;;#ASMEND
	v_cvt_f32_u32_sdwa v51, v13 dst_sel:DWORD dst_unused:UNUSED_PAD src0_sel:WORD_1
	v_cvt_f32_u32_sdwa v50, v13 dst_sel:DWORD dst_unused:UNUSED_PAD src0_sel:WORD_0
	;;#ASMSTART
	v_pk_mul_f32 v[12:13], v[42:43], v[46:47]
	;;#ASMEND
	;;#ASMSTART
	v_pk_mul_f32 v[40:41], v[40:41], v[48:49]
	;;#ASMEND
	;;#ASMSTART
	v_pk_mul_f32 v[10:11], v[38:39], v[10:11]
	;;#ASMEND
	s_waitcnt vmcnt(1)
	v_cvt_f32_u32_sdwa v39, v6 dst_sel:DWORD dst_unused:UNUSED_PAD src0_sel:WORD_1
	v_cvt_f32_u32_sdwa v38, v6 dst_sel:DWORD dst_unused:UNUSED_PAD src0_sel:WORD_0
	v_cvt_f32_u32_sdwa v43, v7 dst_sel:DWORD dst_unused:UNUSED_PAD src0_sel:WORD_1
	v_cvt_f32_u32_sdwa v42, v7 dst_sel:DWORD dst_unused:UNUSED_PAD src0_sel:WORD_0
	;; [unrolled: 2-line block ×3, first 2 shown]
	s_add_u32 s0, s5, s0
	;;#ASMSTART
	v_pk_mul_f32 v[36:37], v[36:37], v[50:51]
	;;#ASMEND
	v_cvt_f32_u32_sdwa v47, v9 dst_sel:DWORD dst_unused:UNUSED_PAD src0_sel:WORD_1
	v_cvt_f32_u32_sdwa v46, v9 dst_sel:DWORD dst_unused:UNUSED_PAD src0_sel:WORD_0
	;;#ASMSTART
	v_pk_mul_f32 v[8:9], v[34:35], v[38:39]
	;;#ASMEND
	;;#ASMSTART
	v_pk_mul_f32 v[32:33], v[32:33], v[42:43]
	;;#ASMEND
	;; [unrolled: 3-line block ×3, first 2 shown]
	s_waitcnt vmcnt(0)
	v_cvt_f32_u32_sdwa v31, v2 dst_sel:DWORD dst_unused:UNUSED_PAD src0_sel:WORD_1
	v_cvt_f32_u32_sdwa v30, v2 dst_sel:DWORD dst_unused:UNUSED_PAD src0_sel:WORD_0
	v_cvt_f32_u32_sdwa v35, v3 dst_sel:DWORD dst_unused:UNUSED_PAD src0_sel:WORD_1
	v_cvt_f32_u32_sdwa v34, v3 dst_sel:DWORD dst_unused:UNUSED_PAD src0_sel:WORD_0
	;; [unrolled: 2-line block ×3, first 2 shown]
	s_addc_u32 s1, s4, s1
	s_mov_b32 s4, 0x7060302
	;;#ASMSTART
	v_pk_mul_f32 v[28:29], v[28:29], v[46:47]
	;;#ASMEND
	v_cvt_f32_u32_sdwa v39, v5 dst_sel:DWORD dst_unused:UNUSED_PAD src0_sel:WORD_1
	v_cvt_f32_u32_sdwa v38, v5 dst_sel:DWORD dst_unused:UNUSED_PAD src0_sel:WORD_0
	;;#ASMSTART
	v_pk_mul_f32 v[26:27], v[26:27], v[30:31]
	;;#ASMEND
	;;#ASMSTART
	v_pk_mul_f32 v[24:25], v[24:25], v[34:35]
	;;#ASMEND
	;; [unrolled: 3-line block ×3, first 2 shown]
	s_and_b32 s1, s1, 0xffff
	v_perm_b32 v2, v17, v16, s4
	v_perm_b32 v3, v21, v20, s4
	;; [unrolled: 1-line block ×4, first 2 shown]
	;;#ASMSTART
	v_pk_mul_f32 v[18:19], v[18:19], v[38:39]
	;;#ASMEND
	buffer_store_dwordx4 v[2:5], v1, s[0:3], 0 offen
	;;#ASMSTART
	s_nop 0
	;;#ASMEND
	s_nop 0
	v_perm_b32 v2, v13, v12, s4
	v_perm_b32 v3, v41, v40, s4
	;; [unrolled: 1-line block ×4, first 2 shown]
	buffer_store_dwordx4 v[2:5], v1, s[0:3], s11 offen
	v_perm_b32 v2, v9, v8, s4
	v_perm_b32 v3, v33, v32, s4
	;; [unrolled: 1-line block ×4, first 2 shown]
	;;#ASMSTART
	s_nop 0
	;;#ASMEND
	buffer_store_dwordx4 v[2:5], v1, s[0:3], s10 offen
	v_perm_b32 v2, v27, v26, s4
	v_perm_b32 v3, v25, v24, s4
	;; [unrolled: 1-line block ×4, first 2 shown]
	;;#ASMSTART
	s_nop 0
	;;#ASMEND
	buffer_store_dwordx4 v[2:5], v1, s[0:3], s7 offen
	;;#ASMSTART
	s_nop 0
	;;#ASMEND
.LBB24_4:
	s_endpgm
	.section	.rodata,"a",@progbits
	.p2align	6, 0x0
	.amdhsa_kernel _ZN5aiter23fused_qk_rmsnorm_kernelItLi256ELi32ELb1ELi1EEEvPT_S2_PKS1_S4_S4_S4_ffiiiiiii
		.amdhsa_group_segment_fixed_size 16
		.amdhsa_private_segment_fixed_size 0
		.amdhsa_kernarg_size 84
		.amdhsa_user_sgpr_count 6
		.amdhsa_user_sgpr_private_segment_buffer 1
		.amdhsa_user_sgpr_dispatch_ptr 0
		.amdhsa_user_sgpr_queue_ptr 0
		.amdhsa_user_sgpr_kernarg_segment_ptr 1
		.amdhsa_user_sgpr_dispatch_id 0
		.amdhsa_user_sgpr_flat_scratch_init 0
		.amdhsa_user_sgpr_kernarg_preload_length 0
		.amdhsa_user_sgpr_kernarg_preload_offset 0
		.amdhsa_user_sgpr_private_segment_size 0
		.amdhsa_uses_dynamic_stack 0
		.amdhsa_system_sgpr_private_segment_wavefront_offset 0
		.amdhsa_system_sgpr_workgroup_id_x 1
		.amdhsa_system_sgpr_workgroup_id_y 1
		.amdhsa_system_sgpr_workgroup_id_z 0
		.amdhsa_system_sgpr_workgroup_info 0
		.amdhsa_system_vgpr_workitem_id 0
		.amdhsa_next_free_vgpr 60
		.amdhsa_next_free_sgpr 32
		.amdhsa_accum_offset 60
		.amdhsa_reserve_vcc 1
		.amdhsa_reserve_flat_scratch 0
		.amdhsa_float_round_mode_32 0
		.amdhsa_float_round_mode_16_64 0
		.amdhsa_float_denorm_mode_32 3
		.amdhsa_float_denorm_mode_16_64 3
		.amdhsa_dx10_clamp 1
		.amdhsa_ieee_mode 1
		.amdhsa_fp16_overflow 0
		.amdhsa_tg_split 0
		.amdhsa_exception_fp_ieee_invalid_op 0
		.amdhsa_exception_fp_denorm_src 0
		.amdhsa_exception_fp_ieee_div_zero 0
		.amdhsa_exception_fp_ieee_overflow 0
		.amdhsa_exception_fp_ieee_underflow 0
		.amdhsa_exception_fp_ieee_inexact 0
		.amdhsa_exception_int_div_zero 0
	.end_amdhsa_kernel
	.section	.text._ZN5aiter23fused_qk_rmsnorm_kernelItLi256ELi32ELb1ELi1EEEvPT_S2_PKS1_S4_S4_S4_ffiiiiiii,"axG",@progbits,_ZN5aiter23fused_qk_rmsnorm_kernelItLi256ELi32ELb1ELi1EEEvPT_S2_PKS1_S4_S4_S4_ffiiiiiii,comdat
.Lfunc_end24:
	.size	_ZN5aiter23fused_qk_rmsnorm_kernelItLi256ELi32ELb1ELi1EEEvPT_S2_PKS1_S4_S4_S4_ffiiiiiii, .Lfunc_end24-_ZN5aiter23fused_qk_rmsnorm_kernelItLi256ELi32ELb1ELi1EEEvPT_S2_PKS1_S4_S4_S4_ffiiiiiii
                                        ; -- End function
	.section	.AMDGPU.csdata,"",@progbits
; Kernel info:
; codeLenInByte = 1864
; NumSgprs: 36
; NumVgprs: 60
; NumAgprs: 0
; TotalNumVgprs: 60
; ScratchSize: 0
; MemoryBound: 0
; FloatMode: 240
; IeeeMode: 1
; LDSByteSize: 16 bytes/workgroup (compile time only)
; SGPRBlocks: 4
; VGPRBlocks: 7
; NumSGPRsForWavesPerEU: 36
; NumVGPRsForWavesPerEU: 60
; AccumOffset: 60
; Occupancy: 8
; WaveLimiterHint : 0
; COMPUTE_PGM_RSRC2:SCRATCH_EN: 0
; COMPUTE_PGM_RSRC2:USER_SGPR: 6
; COMPUTE_PGM_RSRC2:TRAP_HANDLER: 0
; COMPUTE_PGM_RSRC2:TGID_X_EN: 1
; COMPUTE_PGM_RSRC2:TGID_Y_EN: 1
; COMPUTE_PGM_RSRC2:TGID_Z_EN: 0
; COMPUTE_PGM_RSRC2:TIDIG_COMP_CNT: 0
; COMPUTE_PGM_RSRC3_GFX90A:ACCUM_OFFSET: 14
; COMPUTE_PGM_RSRC3_GFX90A:TG_SPLIT: 0
	.text
	.p2alignl 6, 3212836864
	.fill 256, 4, 3212836864
	.type	__hip_cuid_28d46c7ae98b4152,@object ; @__hip_cuid_28d46c7ae98b4152
	.section	.bss,"aw",@nobits
	.globl	__hip_cuid_28d46c7ae98b4152
__hip_cuid_28d46c7ae98b4152:
	.byte	0                               ; 0x0
	.size	__hip_cuid_28d46c7ae98b4152, 1

	.ident	"AMD clang version 19.0.0git (https://github.com/RadeonOpenCompute/llvm-project roc-6.4.0 25133 c7fe45cf4b819c5991fe208aaa96edf142730f1d)"
	.section	".note.GNU-stack","",@progbits
	.addrsig
	.addrsig_sym __hip_cuid_28d46c7ae98b4152
	.amdgpu_metadata
---
amdhsa.kernels:
  - .agpr_count:     0
    .args:           []
    .group_segment_fixed_size: 0
    .kernarg_segment_align: 4
    .kernarg_segment_size: 0
    .language:       OpenCL C
    .language_version:
      - 2
      - 0
    .max_flat_workgroup_size: 1024
    .name:           _ZN7ck_tileL11flush_cacheEv
    .private_segment_fixed_size: 0
    .sgpr_count:     4
    .sgpr_spill_count: 0
    .symbol:         _ZN7ck_tileL11flush_cacheEv.kd
    .uniform_work_group_size: 1
    .uses_dynamic_stack: false
    .vgpr_count:     0
    .vgpr_spill_count: 0
    .wavefront_size: 64
  - .agpr_count:     0
    .args:
      - .actual_access:  write_only
        .address_space:  global
        .offset:         0
        .size:           8
        .value_kind:     global_buffer
      - .actual_access:  write_only
        .address_space:  global
        .offset:         8
        .size:           8
        .value_kind:     global_buffer
      - .actual_access:  read_only
        .address_space:  global
        .offset:         16
        .size:           8
        .value_kind:     global_buffer
      - .actual_access:  read_only
        .address_space:  global
        .offset:         24
        .size:           8
        .value_kind:     global_buffer
      - .actual_access:  read_only
        .address_space:  global
        .offset:         32
        .size:           8
        .value_kind:     global_buffer
      - .actual_access:  read_only
        .address_space:  global
        .offset:         40
        .size:           8
        .value_kind:     global_buffer
      - .offset:         48
        .size:           4
        .value_kind:     by_value
      - .offset:         52
        .size:           4
        .value_kind:     by_value
      - .offset:         56
        .size:           4
        .value_kind:     by_value
      - .offset:         60
        .size:           4
        .value_kind:     by_value
      - .offset:         64
        .size:           4
        .value_kind:     by_value
      - .offset:         68
        .size:           4
        .value_kind:     by_value
      - .offset:         72
        .size:           4
        .value_kind:     by_value
      - .offset:         76
        .size:           4
        .value_kind:     by_value
      - .offset:         80
        .size:           4
        .value_kind:     by_value
    .group_segment_fixed_size: 0
    .kernarg_segment_align: 8
    .kernarg_segment_size: 84
    .language:       OpenCL C
    .language_version:
      - 2
      - 0
    .max_flat_workgroup_size: 1024
    .name:           _ZN5aiter23fused_qk_rmsnorm_kernelIDF16_Li64ELi8ELb1ELi4EEEvPT_S2_PKS1_S4_S4_S4_ffiiiiiii
    .private_segment_fixed_size: 0
    .sgpr_count:     36
    .sgpr_spill_count: 0
    .symbol:         _ZN5aiter23fused_qk_rmsnorm_kernelIDF16_Li64ELi8ELb1ELi4EEEvPT_S2_PKS1_S4_S4_S4_ffiiiiiii.kd
    .uniform_work_group_size: 1
    .uses_dynamic_stack: false
    .vgpr_count:     38
    .vgpr_spill_count: 0
    .wavefront_size: 64
  - .agpr_count:     0
    .args:
      - .actual_access:  write_only
        .address_space:  global
        .offset:         0
        .size:           8
        .value_kind:     global_buffer
      - .actual_access:  write_only
        .address_space:  global
        .offset:         8
        .size:           8
        .value_kind:     global_buffer
      - .actual_access:  read_only
        .address_space:  global
        .offset:         16
        .size:           8
        .value_kind:     global_buffer
      - .actual_access:  read_only
        .address_space:  global
        .offset:         24
        .size:           8
        .value_kind:     global_buffer
      - .actual_access:  read_only
        .address_space:  global
        .offset:         32
        .size:           8
        .value_kind:     global_buffer
      - .actual_access:  read_only
        .address_space:  global
        .offset:         40
        .size:           8
        .value_kind:     global_buffer
      - .offset:         48
        .size:           4
        .value_kind:     by_value
      - .offset:         52
        .size:           4
        .value_kind:     by_value
      - .offset:         56
        .size:           4
        .value_kind:     by_value
      - .offset:         60
        .size:           4
        .value_kind:     by_value
      - .offset:         64
        .size:           4
        .value_kind:     by_value
      - .offset:         68
        .size:           4
        .value_kind:     by_value
      - .offset:         72
        .size:           4
        .value_kind:     by_value
      - .offset:         76
        .size:           4
        .value_kind:     by_value
      - .offset:         80
        .size:           4
        .value_kind:     by_value
    .group_segment_fixed_size: 0
    .kernarg_segment_align: 8
    .kernarg_segment_size: 84
    .language:       OpenCL C
    .language_version:
      - 2
      - 0
    .max_flat_workgroup_size: 1024
    .name:           _ZN5aiter23fused_qk_rmsnorm_kernelItLi64ELi8ELb1ELi4EEEvPT_S2_PKS1_S4_S4_S4_ffiiiiiii
    .private_segment_fixed_size: 0
    .sgpr_count:     36
    .sgpr_spill_count: 0
    .symbol:         _ZN5aiter23fused_qk_rmsnorm_kernelItLi64ELi8ELb1ELi4EEEvPT_S2_PKS1_S4_S4_S4_ffiiiiiii.kd
    .uniform_work_group_size: 1
    .uses_dynamic_stack: false
    .vgpr_count:     36
    .vgpr_spill_count: 0
    .wavefront_size: 64
  - .agpr_count:     0
    .args:
      - .actual_access:  write_only
        .address_space:  global
        .offset:         0
        .size:           8
        .value_kind:     global_buffer
      - .actual_access:  write_only
        .address_space:  global
        .offset:         8
        .size:           8
        .value_kind:     global_buffer
      - .actual_access:  read_only
        .address_space:  global
        .offset:         16
        .size:           8
        .value_kind:     global_buffer
      - .actual_access:  read_only
        .address_space:  global
        .offset:         24
        .size:           8
        .value_kind:     global_buffer
      - .actual_access:  read_only
        .address_space:  global
        .offset:         32
        .size:           8
        .value_kind:     global_buffer
      - .actual_access:  read_only
        .address_space:  global
        .offset:         40
        .size:           8
        .value_kind:     global_buffer
      - .offset:         48
        .size:           4
        .value_kind:     by_value
      - .offset:         52
        .size:           4
        .value_kind:     by_value
      - .offset:         56
        .size:           4
        .value_kind:     by_value
      - .offset:         60
        .size:           4
        .value_kind:     by_value
      - .offset:         64
        .size:           4
        .value_kind:     by_value
      - .offset:         68
        .size:           4
        .value_kind:     by_value
      - .offset:         72
        .size:           4
        .value_kind:     by_value
      - .offset:         76
        .size:           4
        .value_kind:     by_value
      - .offset:         80
        .size:           4
        .value_kind:     by_value
    .group_segment_fixed_size: 0
    .kernarg_segment_align: 8
    .kernarg_segment_size: 84
    .language:       OpenCL C
    .language_version:
      - 2
      - 0
    .max_flat_workgroup_size: 1024
    .name:           _ZN5aiter23fused_qk_rmsnorm_kernelIDF16_Li64ELi8ELb1ELi1EEEvPT_S2_PKS1_S4_S4_S4_ffiiiiiii
    .private_segment_fixed_size: 0
    .sgpr_count:     32
    .sgpr_spill_count: 0
    .symbol:         _ZN5aiter23fused_qk_rmsnorm_kernelIDF16_Li64ELi8ELb1ELi1EEEvPT_S2_PKS1_S4_S4_S4_ffiiiiiii.kd
    .uniform_work_group_size: 1
    .uses_dynamic_stack: false
    .vgpr_count:     25
    .vgpr_spill_count: 0
    .wavefront_size: 64
  - .agpr_count:     0
    .args:
      - .actual_access:  write_only
        .address_space:  global
        .offset:         0
        .size:           8
        .value_kind:     global_buffer
      - .actual_access:  write_only
        .address_space:  global
        .offset:         8
        .size:           8
        .value_kind:     global_buffer
      - .actual_access:  read_only
        .address_space:  global
        .offset:         16
        .size:           8
        .value_kind:     global_buffer
      - .actual_access:  read_only
        .address_space:  global
        .offset:         24
        .size:           8
        .value_kind:     global_buffer
      - .actual_access:  read_only
        .address_space:  global
        .offset:         32
        .size:           8
        .value_kind:     global_buffer
      - .actual_access:  read_only
        .address_space:  global
        .offset:         40
        .size:           8
        .value_kind:     global_buffer
      - .offset:         48
        .size:           4
        .value_kind:     by_value
      - .offset:         52
        .size:           4
        .value_kind:     by_value
      - .offset:         56
        .size:           4
        .value_kind:     by_value
      - .offset:         60
        .size:           4
        .value_kind:     by_value
      - .offset:         64
        .size:           4
        .value_kind:     by_value
      - .offset:         68
        .size:           4
        .value_kind:     by_value
      - .offset:         72
        .size:           4
        .value_kind:     by_value
      - .offset:         76
        .size:           4
        .value_kind:     by_value
      - .offset:         80
        .size:           4
        .value_kind:     by_value
    .group_segment_fixed_size: 0
    .kernarg_segment_align: 8
    .kernarg_segment_size: 84
    .language:       OpenCL C
    .language_version:
      - 2
      - 0
    .max_flat_workgroup_size: 1024
    .name:           _ZN5aiter23fused_qk_rmsnorm_kernelItLi64ELi8ELb1ELi1EEEvPT_S2_PKS1_S4_S4_S4_ffiiiiiii
    .private_segment_fixed_size: 0
    .sgpr_count:     32
    .sgpr_spill_count: 0
    .symbol:         _ZN5aiter23fused_qk_rmsnorm_kernelItLi64ELi8ELb1ELi1EEEvPT_S2_PKS1_S4_S4_S4_ffiiiiiii.kd
    .uniform_work_group_size: 1
    .uses_dynamic_stack: false
    .vgpr_count:     25
    .vgpr_spill_count: 0
    .wavefront_size: 64
  - .agpr_count:     0
    .args:
      - .actual_access:  write_only
        .address_space:  global
        .offset:         0
        .size:           8
        .value_kind:     global_buffer
      - .actual_access:  write_only
        .address_space:  global
        .offset:         8
        .size:           8
        .value_kind:     global_buffer
      - .actual_access:  read_only
        .address_space:  global
        .offset:         16
        .size:           8
        .value_kind:     global_buffer
      - .actual_access:  read_only
        .address_space:  global
        .offset:         24
        .size:           8
        .value_kind:     global_buffer
      - .actual_access:  read_only
        .address_space:  global
        .offset:         32
        .size:           8
        .value_kind:     global_buffer
      - .actual_access:  read_only
        .address_space:  global
        .offset:         40
        .size:           8
        .value_kind:     global_buffer
      - .offset:         48
        .size:           4
        .value_kind:     by_value
      - .offset:         52
        .size:           4
        .value_kind:     by_value
      - .offset:         56
        .size:           4
        .value_kind:     by_value
      - .offset:         60
        .size:           4
        .value_kind:     by_value
      - .offset:         64
        .size:           4
        .value_kind:     by_value
      - .offset:         68
        .size:           4
        .value_kind:     by_value
      - .offset:         72
        .size:           4
        .value_kind:     by_value
      - .offset:         76
        .size:           4
        .value_kind:     by_value
      - .offset:         80
        .size:           4
        .value_kind:     by_value
    .group_segment_fixed_size: 8
    .kernarg_segment_align: 8
    .kernarg_segment_size: 84
    .language:       OpenCL C
    .language_version:
      - 2
      - 0
    .max_flat_workgroup_size: 1024
    .name:           _ZN5aiter23fused_qk_rmsnorm_kernelIDF16_Li128ELi8ELb1ELi4EEEvPT_S2_PKS1_S4_S4_S4_ffiiiiiii
    .private_segment_fixed_size: 0
    .sgpr_count:     36
    .sgpr_spill_count: 0
    .symbol:         _ZN5aiter23fused_qk_rmsnorm_kernelIDF16_Li128ELi8ELb1ELi4EEEvPT_S2_PKS1_S4_S4_S4_ffiiiiiii.kd
    .uniform_work_group_size: 1
    .uses_dynamic_stack: false
    .vgpr_count:     40
    .vgpr_spill_count: 0
    .wavefront_size: 64
  - .agpr_count:     0
    .args:
      - .actual_access:  write_only
        .address_space:  global
        .offset:         0
        .size:           8
        .value_kind:     global_buffer
      - .actual_access:  write_only
        .address_space:  global
        .offset:         8
        .size:           8
        .value_kind:     global_buffer
      - .actual_access:  read_only
        .address_space:  global
        .offset:         16
        .size:           8
        .value_kind:     global_buffer
      - .actual_access:  read_only
        .address_space:  global
        .offset:         24
        .size:           8
        .value_kind:     global_buffer
      - .actual_access:  read_only
        .address_space:  global
        .offset:         32
        .size:           8
        .value_kind:     global_buffer
      - .actual_access:  read_only
        .address_space:  global
        .offset:         40
        .size:           8
        .value_kind:     global_buffer
      - .offset:         48
        .size:           4
        .value_kind:     by_value
      - .offset:         52
        .size:           4
        .value_kind:     by_value
      - .offset:         56
        .size:           4
        .value_kind:     by_value
      - .offset:         60
        .size:           4
        .value_kind:     by_value
      - .offset:         64
        .size:           4
        .value_kind:     by_value
      - .offset:         68
        .size:           4
        .value_kind:     by_value
      - .offset:         72
        .size:           4
        .value_kind:     by_value
      - .offset:         76
        .size:           4
        .value_kind:     by_value
      - .offset:         80
        .size:           4
        .value_kind:     by_value
    .group_segment_fixed_size: 8
    .kernarg_segment_align: 8
    .kernarg_segment_size: 84
    .language:       OpenCL C
    .language_version:
      - 2
      - 0
    .max_flat_workgroup_size: 1024
    .name:           _ZN5aiter23fused_qk_rmsnorm_kernelItLi128ELi8ELb1ELi4EEEvPT_S2_PKS1_S4_S4_S4_ffiiiiiii
    .private_segment_fixed_size: 0
    .sgpr_count:     36
    .sgpr_spill_count: 0
    .symbol:         _ZN5aiter23fused_qk_rmsnorm_kernelItLi128ELi8ELb1ELi4EEEvPT_S2_PKS1_S4_S4_S4_ffiiiiiii.kd
    .uniform_work_group_size: 1
    .uses_dynamic_stack: false
    .vgpr_count:     37
    .vgpr_spill_count: 0
    .wavefront_size: 64
  - .agpr_count:     0
    .args:
      - .actual_access:  write_only
        .address_space:  global
        .offset:         0
        .size:           8
        .value_kind:     global_buffer
      - .actual_access:  write_only
        .address_space:  global
        .offset:         8
        .size:           8
        .value_kind:     global_buffer
      - .actual_access:  read_only
        .address_space:  global
        .offset:         16
        .size:           8
        .value_kind:     global_buffer
      - .actual_access:  read_only
        .address_space:  global
        .offset:         24
        .size:           8
        .value_kind:     global_buffer
      - .actual_access:  read_only
        .address_space:  global
        .offset:         32
        .size:           8
        .value_kind:     global_buffer
      - .actual_access:  read_only
        .address_space:  global
        .offset:         40
        .size:           8
        .value_kind:     global_buffer
      - .offset:         48
        .size:           4
        .value_kind:     by_value
      - .offset:         52
        .size:           4
        .value_kind:     by_value
      - .offset:         56
        .size:           4
        .value_kind:     by_value
      - .offset:         60
        .size:           4
        .value_kind:     by_value
      - .offset:         64
        .size:           4
        .value_kind:     by_value
      - .offset:         68
        .size:           4
        .value_kind:     by_value
      - .offset:         72
        .size:           4
        .value_kind:     by_value
      - .offset:         76
        .size:           4
        .value_kind:     by_value
      - .offset:         80
        .size:           4
        .value_kind:     by_value
    .group_segment_fixed_size: 8
    .kernarg_segment_align: 8
    .kernarg_segment_size: 84
    .language:       OpenCL C
    .language_version:
      - 2
      - 0
    .max_flat_workgroup_size: 1024
    .name:           _ZN5aiter23fused_qk_rmsnorm_kernelIDF16_Li128ELi8ELb1ELi1EEEvPT_S2_PKS1_S4_S4_S4_ffiiiiiii
    .private_segment_fixed_size: 0
    .sgpr_count:     32
    .sgpr_spill_count: 0
    .symbol:         _ZN5aiter23fused_qk_rmsnorm_kernelIDF16_Li128ELi8ELb1ELi1EEEvPT_S2_PKS1_S4_S4_S4_ffiiiiiii.kd
    .uniform_work_group_size: 1
    .uses_dynamic_stack: false
    .vgpr_count:     23
    .vgpr_spill_count: 0
    .wavefront_size: 64
  - .agpr_count:     0
    .args:
      - .actual_access:  write_only
        .address_space:  global
        .offset:         0
        .size:           8
        .value_kind:     global_buffer
      - .actual_access:  write_only
        .address_space:  global
        .offset:         8
        .size:           8
        .value_kind:     global_buffer
      - .actual_access:  read_only
        .address_space:  global
        .offset:         16
        .size:           8
        .value_kind:     global_buffer
      - .actual_access:  read_only
        .address_space:  global
        .offset:         24
        .size:           8
        .value_kind:     global_buffer
      - .actual_access:  read_only
        .address_space:  global
        .offset:         32
        .size:           8
        .value_kind:     global_buffer
      - .actual_access:  read_only
        .address_space:  global
        .offset:         40
        .size:           8
        .value_kind:     global_buffer
      - .offset:         48
        .size:           4
        .value_kind:     by_value
      - .offset:         52
        .size:           4
        .value_kind:     by_value
      - .offset:         56
        .size:           4
        .value_kind:     by_value
      - .offset:         60
        .size:           4
        .value_kind:     by_value
      - .offset:         64
        .size:           4
        .value_kind:     by_value
      - .offset:         68
        .size:           4
        .value_kind:     by_value
      - .offset:         72
        .size:           4
        .value_kind:     by_value
      - .offset:         76
        .size:           4
        .value_kind:     by_value
      - .offset:         80
        .size:           4
        .value_kind:     by_value
    .group_segment_fixed_size: 8
    .kernarg_segment_align: 8
    .kernarg_segment_size: 84
    .language:       OpenCL C
    .language_version:
      - 2
      - 0
    .max_flat_workgroup_size: 1024
    .name:           _ZN5aiter23fused_qk_rmsnorm_kernelItLi128ELi8ELb1ELi1EEEvPT_S2_PKS1_S4_S4_S4_ffiiiiiii
    .private_segment_fixed_size: 0
    .sgpr_count:     32
    .sgpr_spill_count: 0
    .symbol:         _ZN5aiter23fused_qk_rmsnorm_kernelItLi128ELi8ELb1ELi1EEEvPT_S2_PKS1_S4_S4_S4_ffiiiiiii.kd
    .uniform_work_group_size: 1
    .uses_dynamic_stack: false
    .vgpr_count:     23
    .vgpr_spill_count: 0
    .wavefront_size: 64
  - .agpr_count:     0
    .args:
      - .actual_access:  write_only
        .address_space:  global
        .offset:         0
        .size:           8
        .value_kind:     global_buffer
      - .actual_access:  write_only
        .address_space:  global
        .offset:         8
        .size:           8
        .value_kind:     global_buffer
      - .actual_access:  read_only
        .address_space:  global
        .offset:         16
        .size:           8
        .value_kind:     global_buffer
      - .actual_access:  read_only
        .address_space:  global
        .offset:         24
        .size:           8
        .value_kind:     global_buffer
      - .actual_access:  read_only
        .address_space:  global
        .offset:         32
        .size:           8
        .value_kind:     global_buffer
      - .actual_access:  read_only
        .address_space:  global
        .offset:         40
        .size:           8
        .value_kind:     global_buffer
      - .offset:         48
        .size:           4
        .value_kind:     by_value
      - .offset:         52
        .size:           4
        .value_kind:     by_value
      - .offset:         56
        .size:           4
        .value_kind:     by_value
      - .offset:         60
        .size:           4
        .value_kind:     by_value
      - .offset:         64
        .size:           4
        .value_kind:     by_value
      - .offset:         68
        .size:           4
        .value_kind:     by_value
      - .offset:         72
        .size:           4
        .value_kind:     by_value
      - .offset:         76
        .size:           4
        .value_kind:     by_value
      - .offset:         80
        .size:           4
        .value_kind:     by_value
    .group_segment_fixed_size: 16
    .kernarg_segment_align: 8
    .kernarg_segment_size: 84
    .language:       OpenCL C
    .language_version:
      - 2
      - 0
    .max_flat_workgroup_size: 1024
    .name:           _ZN5aiter23fused_qk_rmsnorm_kernelIDF16_Li256ELi8ELb1ELi4EEEvPT_S2_PKS1_S4_S4_S4_ffiiiiiii
    .private_segment_fixed_size: 0
    .sgpr_count:     36
    .sgpr_spill_count: 0
    .symbol:         _ZN5aiter23fused_qk_rmsnorm_kernelIDF16_Li256ELi8ELb1ELi4EEEvPT_S2_PKS1_S4_S4_S4_ffiiiiiii.kd
    .uniform_work_group_size: 1
    .uses_dynamic_stack: false
    .vgpr_count:     40
    .vgpr_spill_count: 0
    .wavefront_size: 64
  - .agpr_count:     0
    .args:
      - .actual_access:  write_only
        .address_space:  global
        .offset:         0
        .size:           8
        .value_kind:     global_buffer
      - .actual_access:  write_only
        .address_space:  global
        .offset:         8
        .size:           8
        .value_kind:     global_buffer
      - .actual_access:  read_only
        .address_space:  global
        .offset:         16
        .size:           8
        .value_kind:     global_buffer
      - .actual_access:  read_only
        .address_space:  global
        .offset:         24
        .size:           8
        .value_kind:     global_buffer
      - .actual_access:  read_only
        .address_space:  global
        .offset:         32
        .size:           8
        .value_kind:     global_buffer
      - .actual_access:  read_only
        .address_space:  global
        .offset:         40
        .size:           8
        .value_kind:     global_buffer
      - .offset:         48
        .size:           4
        .value_kind:     by_value
      - .offset:         52
        .size:           4
        .value_kind:     by_value
      - .offset:         56
        .size:           4
        .value_kind:     by_value
      - .offset:         60
        .size:           4
        .value_kind:     by_value
      - .offset:         64
        .size:           4
        .value_kind:     by_value
      - .offset:         68
        .size:           4
        .value_kind:     by_value
      - .offset:         72
        .size:           4
        .value_kind:     by_value
      - .offset:         76
        .size:           4
        .value_kind:     by_value
      - .offset:         80
        .size:           4
        .value_kind:     by_value
    .group_segment_fixed_size: 16
    .kernarg_segment_align: 8
    .kernarg_segment_size: 84
    .language:       OpenCL C
    .language_version:
      - 2
      - 0
    .max_flat_workgroup_size: 1024
    .name:           _ZN5aiter23fused_qk_rmsnorm_kernelItLi256ELi8ELb1ELi4EEEvPT_S2_PKS1_S4_S4_S4_ffiiiiiii
    .private_segment_fixed_size: 0
    .sgpr_count:     36
    .sgpr_spill_count: 0
    .symbol:         _ZN5aiter23fused_qk_rmsnorm_kernelItLi256ELi8ELb1ELi4EEEvPT_S2_PKS1_S4_S4_S4_ffiiiiiii.kd
    .uniform_work_group_size: 1
    .uses_dynamic_stack: false
    .vgpr_count:     37
    .vgpr_spill_count: 0
    .wavefront_size: 64
  - .agpr_count:     0
    .args:
      - .actual_access:  write_only
        .address_space:  global
        .offset:         0
        .size:           8
        .value_kind:     global_buffer
      - .actual_access:  write_only
        .address_space:  global
        .offset:         8
        .size:           8
        .value_kind:     global_buffer
      - .actual_access:  read_only
        .address_space:  global
        .offset:         16
        .size:           8
        .value_kind:     global_buffer
      - .actual_access:  read_only
        .address_space:  global
        .offset:         24
        .size:           8
        .value_kind:     global_buffer
      - .actual_access:  read_only
        .address_space:  global
        .offset:         32
        .size:           8
        .value_kind:     global_buffer
      - .actual_access:  read_only
        .address_space:  global
        .offset:         40
        .size:           8
        .value_kind:     global_buffer
      - .offset:         48
        .size:           4
        .value_kind:     by_value
      - .offset:         52
        .size:           4
        .value_kind:     by_value
      - .offset:         56
        .size:           4
        .value_kind:     by_value
      - .offset:         60
        .size:           4
        .value_kind:     by_value
      - .offset:         64
        .size:           4
        .value_kind:     by_value
      - .offset:         68
        .size:           4
        .value_kind:     by_value
      - .offset:         72
        .size:           4
        .value_kind:     by_value
      - .offset:         76
        .size:           4
        .value_kind:     by_value
      - .offset:         80
        .size:           4
        .value_kind:     by_value
    .group_segment_fixed_size: 16
    .kernarg_segment_align: 8
    .kernarg_segment_size: 84
    .language:       OpenCL C
    .language_version:
      - 2
      - 0
    .max_flat_workgroup_size: 1024
    .name:           _ZN5aiter23fused_qk_rmsnorm_kernelIDF16_Li256ELi8ELb1ELi1EEEvPT_S2_PKS1_S4_S4_S4_ffiiiiiii
    .private_segment_fixed_size: 0
    .sgpr_count:     32
    .sgpr_spill_count: 0
    .symbol:         _ZN5aiter23fused_qk_rmsnorm_kernelIDF16_Li256ELi8ELb1ELi1EEEvPT_S2_PKS1_S4_S4_S4_ffiiiiiii.kd
    .uniform_work_group_size: 1
    .uses_dynamic_stack: false
    .vgpr_count:     23
    .vgpr_spill_count: 0
    .wavefront_size: 64
  - .agpr_count:     0
    .args:
      - .actual_access:  write_only
        .address_space:  global
        .offset:         0
        .size:           8
        .value_kind:     global_buffer
      - .actual_access:  write_only
        .address_space:  global
        .offset:         8
        .size:           8
        .value_kind:     global_buffer
      - .actual_access:  read_only
        .address_space:  global
        .offset:         16
        .size:           8
        .value_kind:     global_buffer
      - .actual_access:  read_only
        .address_space:  global
        .offset:         24
        .size:           8
        .value_kind:     global_buffer
      - .actual_access:  read_only
        .address_space:  global
        .offset:         32
        .size:           8
        .value_kind:     global_buffer
      - .actual_access:  read_only
        .address_space:  global
        .offset:         40
        .size:           8
        .value_kind:     global_buffer
      - .offset:         48
        .size:           4
        .value_kind:     by_value
      - .offset:         52
        .size:           4
        .value_kind:     by_value
      - .offset:         56
        .size:           4
        .value_kind:     by_value
      - .offset:         60
        .size:           4
        .value_kind:     by_value
      - .offset:         64
        .size:           4
        .value_kind:     by_value
      - .offset:         68
        .size:           4
        .value_kind:     by_value
      - .offset:         72
        .size:           4
        .value_kind:     by_value
      - .offset:         76
        .size:           4
        .value_kind:     by_value
      - .offset:         80
        .size:           4
        .value_kind:     by_value
    .group_segment_fixed_size: 16
    .kernarg_segment_align: 8
    .kernarg_segment_size: 84
    .language:       OpenCL C
    .language_version:
      - 2
      - 0
    .max_flat_workgroup_size: 1024
    .name:           _ZN5aiter23fused_qk_rmsnorm_kernelItLi256ELi8ELb1ELi1EEEvPT_S2_PKS1_S4_S4_S4_ffiiiiiii
    .private_segment_fixed_size: 0
    .sgpr_count:     32
    .sgpr_spill_count: 0
    .symbol:         _ZN5aiter23fused_qk_rmsnorm_kernelItLi256ELi8ELb1ELi1EEEvPT_S2_PKS1_S4_S4_S4_ffiiiiiii.kd
    .uniform_work_group_size: 1
    .uses_dynamic_stack: false
    .vgpr_count:     23
    .vgpr_spill_count: 0
    .wavefront_size: 64
  - .agpr_count:     0
    .args:
      - .actual_access:  write_only
        .address_space:  global
        .offset:         0
        .size:           8
        .value_kind:     global_buffer
      - .actual_access:  write_only
        .address_space:  global
        .offset:         8
        .size:           8
        .value_kind:     global_buffer
      - .actual_access:  read_only
        .address_space:  global
        .offset:         16
        .size:           8
        .value_kind:     global_buffer
      - .actual_access:  read_only
        .address_space:  global
        .offset:         24
        .size:           8
        .value_kind:     global_buffer
      - .actual_access:  read_only
        .address_space:  global
        .offset:         32
        .size:           8
        .value_kind:     global_buffer
      - .actual_access:  read_only
        .address_space:  global
        .offset:         40
        .size:           8
        .value_kind:     global_buffer
      - .offset:         48
        .size:           4
        .value_kind:     by_value
      - .offset:         52
        .size:           4
        .value_kind:     by_value
      - .offset:         56
        .size:           4
        .value_kind:     by_value
      - .offset:         60
        .size:           4
        .value_kind:     by_value
      - .offset:         64
        .size:           4
        .value_kind:     by_value
      - .offset:         68
        .size:           4
        .value_kind:     by_value
      - .offset:         72
        .size:           4
        .value_kind:     by_value
      - .offset:         76
        .size:           4
        .value_kind:     by_value
      - .offset:         80
        .size:           4
        .value_kind:     by_value
    .group_segment_fixed_size: 16
    .kernarg_segment_align: 8
    .kernarg_segment_size: 84
    .language:       OpenCL C
    .language_version:
      - 2
      - 0
    .max_flat_workgroup_size: 1024
    .name:           _ZN5aiter23fused_qk_rmsnorm_kernelIDF16_Li256ELi16ELb1ELi2EEEvPT_S2_PKS1_S4_S4_S4_ffiiiiiii
    .private_segment_fixed_size: 0
    .sgpr_count:     36
    .sgpr_spill_count: 0
    .symbol:         _ZN5aiter23fused_qk_rmsnorm_kernelIDF16_Li256ELi16ELb1ELi2EEEvPT_S2_PKS1_S4_S4_S4_ffiiiiiii.kd
    .uniform_work_group_size: 1
    .uses_dynamic_stack: false
    .vgpr_count:     62
    .vgpr_spill_count: 0
    .wavefront_size: 64
  - .agpr_count:     0
    .args:
      - .actual_access:  write_only
        .address_space:  global
        .offset:         0
        .size:           8
        .value_kind:     global_buffer
      - .actual_access:  write_only
        .address_space:  global
        .offset:         8
        .size:           8
        .value_kind:     global_buffer
      - .actual_access:  read_only
        .address_space:  global
        .offset:         16
        .size:           8
        .value_kind:     global_buffer
      - .actual_access:  read_only
        .address_space:  global
        .offset:         24
        .size:           8
        .value_kind:     global_buffer
      - .actual_access:  read_only
        .address_space:  global
        .offset:         32
        .size:           8
        .value_kind:     global_buffer
      - .actual_access:  read_only
        .address_space:  global
        .offset:         40
        .size:           8
        .value_kind:     global_buffer
      - .offset:         48
        .size:           4
        .value_kind:     by_value
      - .offset:         52
        .size:           4
        .value_kind:     by_value
      - .offset:         56
        .size:           4
        .value_kind:     by_value
      - .offset:         60
        .size:           4
        .value_kind:     by_value
      - .offset:         64
        .size:           4
        .value_kind:     by_value
      - .offset:         68
        .size:           4
        .value_kind:     by_value
      - .offset:         72
        .size:           4
        .value_kind:     by_value
      - .offset:         76
        .size:           4
        .value_kind:     by_value
      - .offset:         80
        .size:           4
        .value_kind:     by_value
    .group_segment_fixed_size: 16
    .kernarg_segment_align: 8
    .kernarg_segment_size: 84
    .language:       OpenCL C
    .language_version:
      - 2
      - 0
    .max_flat_workgroup_size: 1024
    .name:           _ZN5aiter23fused_qk_rmsnorm_kernelItLi256ELi16ELb1ELi2EEEvPT_S2_PKS1_S4_S4_S4_ffiiiiiii
    .private_segment_fixed_size: 0
    .sgpr_count:     36
    .sgpr_spill_count: 0
    .symbol:         _ZN5aiter23fused_qk_rmsnorm_kernelItLi256ELi16ELb1ELi2EEEvPT_S2_PKS1_S4_S4_S4_ffiiiiiii.kd
    .uniform_work_group_size: 1
    .uses_dynamic_stack: false
    .vgpr_count:     62
    .vgpr_spill_count: 0
    .wavefront_size: 64
  - .agpr_count:     0
    .args:
      - .actual_access:  write_only
        .address_space:  global
        .offset:         0
        .size:           8
        .value_kind:     global_buffer
      - .actual_access:  write_only
        .address_space:  global
        .offset:         8
        .size:           8
        .value_kind:     global_buffer
      - .actual_access:  read_only
        .address_space:  global
        .offset:         16
        .size:           8
        .value_kind:     global_buffer
      - .actual_access:  read_only
        .address_space:  global
        .offset:         24
        .size:           8
        .value_kind:     global_buffer
      - .actual_access:  read_only
        .address_space:  global
        .offset:         32
        .size:           8
        .value_kind:     global_buffer
      - .actual_access:  read_only
        .address_space:  global
        .offset:         40
        .size:           8
        .value_kind:     global_buffer
      - .offset:         48
        .size:           4
        .value_kind:     by_value
      - .offset:         52
        .size:           4
        .value_kind:     by_value
      - .offset:         56
        .size:           4
        .value_kind:     by_value
      - .offset:         60
        .size:           4
        .value_kind:     by_value
      - .offset:         64
        .size:           4
        .value_kind:     by_value
      - .offset:         68
        .size:           4
        .value_kind:     by_value
      - .offset:         72
        .size:           4
        .value_kind:     by_value
      - .offset:         76
        .size:           4
        .value_kind:     by_value
      - .offset:         80
        .size:           4
        .value_kind:     by_value
    .group_segment_fixed_size: 16
    .kernarg_segment_align: 8
    .kernarg_segment_size: 84
    .language:       OpenCL C
    .language_version:
      - 2
      - 0
    .max_flat_workgroup_size: 1024
    .name:           _ZN5aiter23fused_qk_rmsnorm_kernelIDF16_Li256ELi16ELb1ELi1EEEvPT_S2_PKS1_S4_S4_S4_ffiiiiiii
    .private_segment_fixed_size: 0
    .sgpr_count:     32
    .sgpr_spill_count: 0
    .symbol:         _ZN5aiter23fused_qk_rmsnorm_kernelIDF16_Li256ELi16ELb1ELi1EEEvPT_S2_PKS1_S4_S4_S4_ffiiiiiii.kd
    .uniform_work_group_size: 1
    .uses_dynamic_stack: false
    .vgpr_count:     43
    .vgpr_spill_count: 0
    .wavefront_size: 64
  - .agpr_count:     0
    .args:
      - .actual_access:  write_only
        .address_space:  global
        .offset:         0
        .size:           8
        .value_kind:     global_buffer
      - .actual_access:  write_only
        .address_space:  global
        .offset:         8
        .size:           8
        .value_kind:     global_buffer
      - .actual_access:  read_only
        .address_space:  global
        .offset:         16
        .size:           8
        .value_kind:     global_buffer
      - .actual_access:  read_only
        .address_space:  global
        .offset:         24
        .size:           8
        .value_kind:     global_buffer
      - .actual_access:  read_only
        .address_space:  global
        .offset:         32
        .size:           8
        .value_kind:     global_buffer
      - .actual_access:  read_only
        .address_space:  global
        .offset:         40
        .size:           8
        .value_kind:     global_buffer
      - .offset:         48
        .size:           4
        .value_kind:     by_value
      - .offset:         52
        .size:           4
        .value_kind:     by_value
      - .offset:         56
        .size:           4
        .value_kind:     by_value
      - .offset:         60
        .size:           4
        .value_kind:     by_value
      - .offset:         64
        .size:           4
        .value_kind:     by_value
      - .offset:         68
        .size:           4
        .value_kind:     by_value
      - .offset:         72
        .size:           4
        .value_kind:     by_value
      - .offset:         76
        .size:           4
        .value_kind:     by_value
      - .offset:         80
        .size:           4
        .value_kind:     by_value
    .group_segment_fixed_size: 16
    .kernarg_segment_align: 8
    .kernarg_segment_size: 84
    .language:       OpenCL C
    .language_version:
      - 2
      - 0
    .max_flat_workgroup_size: 1024
    .name:           _ZN5aiter23fused_qk_rmsnorm_kernelItLi256ELi16ELb1ELi1EEEvPT_S2_PKS1_S4_S4_S4_ffiiiiiii
    .private_segment_fixed_size: 0
    .sgpr_count:     32
    .sgpr_spill_count: 0
    .symbol:         _ZN5aiter23fused_qk_rmsnorm_kernelItLi256ELi16ELb1ELi1EEEvPT_S2_PKS1_S4_S4_S4_ffiiiiiii.kd
    .uniform_work_group_size: 1
    .uses_dynamic_stack: false
    .vgpr_count:     43
    .vgpr_spill_count: 0
    .wavefront_size: 64
  - .agpr_count:     0
    .args:
      - .actual_access:  write_only
        .address_space:  global
        .offset:         0
        .size:           8
        .value_kind:     global_buffer
      - .actual_access:  write_only
        .address_space:  global
        .offset:         8
        .size:           8
        .value_kind:     global_buffer
      - .actual_access:  read_only
        .address_space:  global
        .offset:         16
        .size:           8
        .value_kind:     global_buffer
      - .actual_access:  read_only
        .address_space:  global
        .offset:         24
        .size:           8
        .value_kind:     global_buffer
      - .actual_access:  read_only
        .address_space:  global
        .offset:         32
        .size:           8
        .value_kind:     global_buffer
      - .actual_access:  read_only
        .address_space:  global
        .offset:         40
        .size:           8
        .value_kind:     global_buffer
      - .offset:         48
        .size:           4
        .value_kind:     by_value
      - .offset:         52
        .size:           4
        .value_kind:     by_value
      - .offset:         56
        .size:           4
        .value_kind:     by_value
      - .offset:         60
        .size:           4
        .value_kind:     by_value
      - .offset:         64
        .size:           4
        .value_kind:     by_value
      - .offset:         68
        .size:           4
        .value_kind:     by_value
      - .offset:         72
        .size:           4
        .value_kind:     by_value
      - .offset:         76
        .size:           4
        .value_kind:     by_value
      - .offset:         80
        .size:           4
        .value_kind:     by_value
    .group_segment_fixed_size: 16
    .kernarg_segment_align: 8
    .kernarg_segment_size: 84
    .language:       OpenCL C
    .language_version:
      - 2
      - 0
    .max_flat_workgroup_size: 1024
    .name:           _ZN5aiter23fused_qk_rmsnorm_kernelIDF16_Li256ELi24ELb1ELi2EEEvPT_S2_PKS1_S4_S4_S4_ffiiiiiii
    .private_segment_fixed_size: 0
    .sgpr_count:     36
    .sgpr_spill_count: 0
    .symbol:         _ZN5aiter23fused_qk_rmsnorm_kernelIDF16_Li256ELi24ELb1ELi2EEEvPT_S2_PKS1_S4_S4_S4_ffiiiiiii.kd
    .uniform_work_group_size: 1
    .uses_dynamic_stack: false
    .vgpr_count:     90
    .vgpr_spill_count: 0
    .wavefront_size: 64
  - .agpr_count:     0
    .args:
      - .actual_access:  write_only
        .address_space:  global
        .offset:         0
        .size:           8
        .value_kind:     global_buffer
      - .actual_access:  write_only
        .address_space:  global
        .offset:         8
        .size:           8
        .value_kind:     global_buffer
      - .actual_access:  read_only
        .address_space:  global
        .offset:         16
        .size:           8
        .value_kind:     global_buffer
      - .actual_access:  read_only
        .address_space:  global
        .offset:         24
        .size:           8
        .value_kind:     global_buffer
      - .actual_access:  read_only
        .address_space:  global
        .offset:         32
        .size:           8
        .value_kind:     global_buffer
      - .actual_access:  read_only
        .address_space:  global
        .offset:         40
        .size:           8
        .value_kind:     global_buffer
      - .offset:         48
        .size:           4
        .value_kind:     by_value
      - .offset:         52
        .size:           4
        .value_kind:     by_value
      - .offset:         56
        .size:           4
        .value_kind:     by_value
      - .offset:         60
        .size:           4
        .value_kind:     by_value
      - .offset:         64
        .size:           4
        .value_kind:     by_value
      - .offset:         68
        .size:           4
        .value_kind:     by_value
      - .offset:         72
        .size:           4
        .value_kind:     by_value
      - .offset:         76
        .size:           4
        .value_kind:     by_value
      - .offset:         80
        .size:           4
        .value_kind:     by_value
    .group_segment_fixed_size: 16
    .kernarg_segment_align: 8
    .kernarg_segment_size: 84
    .language:       OpenCL C
    .language_version:
      - 2
      - 0
    .max_flat_workgroup_size: 1024
    .name:           _ZN5aiter23fused_qk_rmsnorm_kernelItLi256ELi24ELb1ELi2EEEvPT_S2_PKS1_S4_S4_S4_ffiiiiiii
    .private_segment_fixed_size: 0
    .sgpr_count:     36
    .sgpr_spill_count: 0
    .symbol:         _ZN5aiter23fused_qk_rmsnorm_kernelItLi256ELi24ELb1ELi2EEEvPT_S2_PKS1_S4_S4_S4_ffiiiiiii.kd
    .uniform_work_group_size: 1
    .uses_dynamic_stack: false
    .vgpr_count:     90
    .vgpr_spill_count: 0
    .wavefront_size: 64
  - .agpr_count:     0
    .args:
      - .actual_access:  write_only
        .address_space:  global
        .offset:         0
        .size:           8
        .value_kind:     global_buffer
      - .actual_access:  write_only
        .address_space:  global
        .offset:         8
        .size:           8
        .value_kind:     global_buffer
      - .actual_access:  read_only
        .address_space:  global
        .offset:         16
        .size:           8
        .value_kind:     global_buffer
      - .actual_access:  read_only
        .address_space:  global
        .offset:         24
        .size:           8
        .value_kind:     global_buffer
      - .actual_access:  read_only
        .address_space:  global
        .offset:         32
        .size:           8
        .value_kind:     global_buffer
      - .actual_access:  read_only
        .address_space:  global
        .offset:         40
        .size:           8
        .value_kind:     global_buffer
      - .offset:         48
        .size:           4
        .value_kind:     by_value
      - .offset:         52
        .size:           4
        .value_kind:     by_value
      - .offset:         56
        .size:           4
        .value_kind:     by_value
      - .offset:         60
        .size:           4
        .value_kind:     by_value
      - .offset:         64
        .size:           4
        .value_kind:     by_value
      - .offset:         68
        .size:           4
        .value_kind:     by_value
      - .offset:         72
        .size:           4
        .value_kind:     by_value
      - .offset:         76
        .size:           4
        .value_kind:     by_value
      - .offset:         80
        .size:           4
        .value_kind:     by_value
    .group_segment_fixed_size: 16
    .kernarg_segment_align: 8
    .kernarg_segment_size: 84
    .language:       OpenCL C
    .language_version:
      - 2
      - 0
    .max_flat_workgroup_size: 1024
    .name:           _ZN5aiter23fused_qk_rmsnorm_kernelIDF16_Li256ELi24ELb1ELi1EEEvPT_S2_PKS1_S4_S4_S4_ffiiiiiii
    .private_segment_fixed_size: 0
    .sgpr_count:     36
    .sgpr_spill_count: 0
    .symbol:         _ZN5aiter23fused_qk_rmsnorm_kernelIDF16_Li256ELi24ELb1ELi1EEEvPT_S2_PKS1_S4_S4_S4_ffiiiiiii.kd
    .uniform_work_group_size: 1
    .uses_dynamic_stack: false
    .vgpr_count:     60
    .vgpr_spill_count: 0
    .wavefront_size: 64
  - .agpr_count:     0
    .args:
      - .actual_access:  write_only
        .address_space:  global
        .offset:         0
        .size:           8
        .value_kind:     global_buffer
      - .actual_access:  write_only
        .address_space:  global
        .offset:         8
        .size:           8
        .value_kind:     global_buffer
      - .actual_access:  read_only
        .address_space:  global
        .offset:         16
        .size:           8
        .value_kind:     global_buffer
      - .actual_access:  read_only
        .address_space:  global
        .offset:         24
        .size:           8
        .value_kind:     global_buffer
      - .actual_access:  read_only
        .address_space:  global
        .offset:         32
        .size:           8
        .value_kind:     global_buffer
      - .actual_access:  read_only
        .address_space:  global
        .offset:         40
        .size:           8
        .value_kind:     global_buffer
      - .offset:         48
        .size:           4
        .value_kind:     by_value
      - .offset:         52
        .size:           4
        .value_kind:     by_value
      - .offset:         56
        .size:           4
        .value_kind:     by_value
      - .offset:         60
        .size:           4
        .value_kind:     by_value
      - .offset:         64
        .size:           4
        .value_kind:     by_value
      - .offset:         68
        .size:           4
        .value_kind:     by_value
      - .offset:         72
        .size:           4
        .value_kind:     by_value
      - .offset:         76
        .size:           4
        .value_kind:     by_value
      - .offset:         80
        .size:           4
        .value_kind:     by_value
    .group_segment_fixed_size: 16
    .kernarg_segment_align: 8
    .kernarg_segment_size: 84
    .language:       OpenCL C
    .language_version:
      - 2
      - 0
    .max_flat_workgroup_size: 1024
    .name:           _ZN5aiter23fused_qk_rmsnorm_kernelItLi256ELi24ELb1ELi1EEEvPT_S2_PKS1_S4_S4_S4_ffiiiiiii
    .private_segment_fixed_size: 0
    .sgpr_count:     36
    .sgpr_spill_count: 0
    .symbol:         _ZN5aiter23fused_qk_rmsnorm_kernelItLi256ELi24ELb1ELi1EEEvPT_S2_PKS1_S4_S4_S4_ffiiiiiii.kd
    .uniform_work_group_size: 1
    .uses_dynamic_stack: false
    .vgpr_count:     60
    .vgpr_spill_count: 0
    .wavefront_size: 64
  - .agpr_count:     0
    .args:
      - .actual_access:  write_only
        .address_space:  global
        .offset:         0
        .size:           8
        .value_kind:     global_buffer
      - .actual_access:  write_only
        .address_space:  global
        .offset:         8
        .size:           8
        .value_kind:     global_buffer
      - .actual_access:  read_only
        .address_space:  global
        .offset:         16
        .size:           8
        .value_kind:     global_buffer
      - .actual_access:  read_only
        .address_space:  global
        .offset:         24
        .size:           8
        .value_kind:     global_buffer
      - .actual_access:  read_only
        .address_space:  global
        .offset:         32
        .size:           8
        .value_kind:     global_buffer
      - .actual_access:  read_only
        .address_space:  global
        .offset:         40
        .size:           8
        .value_kind:     global_buffer
      - .offset:         48
        .size:           4
        .value_kind:     by_value
      - .offset:         52
        .size:           4
        .value_kind:     by_value
      - .offset:         56
        .size:           4
        .value_kind:     by_value
      - .offset:         60
        .size:           4
        .value_kind:     by_value
      - .offset:         64
        .size:           4
        .value_kind:     by_value
      - .offset:         68
        .size:           4
        .value_kind:     by_value
      - .offset:         72
        .size:           4
        .value_kind:     by_value
      - .offset:         76
        .size:           4
        .value_kind:     by_value
      - .offset:         80
        .size:           4
        .value_kind:     by_value
    .group_segment_fixed_size: 16
    .kernarg_segment_align: 8
    .kernarg_segment_size: 84
    .language:       OpenCL C
    .language_version:
      - 2
      - 0
    .max_flat_workgroup_size: 1024
    .name:           _ZN5aiter23fused_qk_rmsnorm_kernelIDF16_Li256ELi32ELb1ELi2EEEvPT_S2_PKS1_S4_S4_S4_ffiiiiiii
    .private_segment_fixed_size: 0
    .sgpr_count:     36
    .sgpr_spill_count: 0
    .symbol:         _ZN5aiter23fused_qk_rmsnorm_kernelIDF16_Li256ELi32ELb1ELi2EEEvPT_S2_PKS1_S4_S4_S4_ffiiiiiii.kd
    .uniform_work_group_size: 1
    .uses_dynamic_stack: false
    .vgpr_count:     118
    .vgpr_spill_count: 0
    .wavefront_size: 64
  - .agpr_count:     0
    .args:
      - .actual_access:  write_only
        .address_space:  global
        .offset:         0
        .size:           8
        .value_kind:     global_buffer
      - .actual_access:  write_only
        .address_space:  global
        .offset:         8
        .size:           8
        .value_kind:     global_buffer
      - .actual_access:  read_only
        .address_space:  global
        .offset:         16
        .size:           8
        .value_kind:     global_buffer
      - .actual_access:  read_only
        .address_space:  global
        .offset:         24
        .size:           8
        .value_kind:     global_buffer
      - .actual_access:  read_only
        .address_space:  global
        .offset:         32
        .size:           8
        .value_kind:     global_buffer
      - .actual_access:  read_only
        .address_space:  global
        .offset:         40
        .size:           8
        .value_kind:     global_buffer
      - .offset:         48
        .size:           4
        .value_kind:     by_value
      - .offset:         52
        .size:           4
        .value_kind:     by_value
      - .offset:         56
        .size:           4
        .value_kind:     by_value
      - .offset:         60
        .size:           4
        .value_kind:     by_value
      - .offset:         64
        .size:           4
        .value_kind:     by_value
      - .offset:         68
        .size:           4
        .value_kind:     by_value
      - .offset:         72
        .size:           4
        .value_kind:     by_value
      - .offset:         76
        .size:           4
        .value_kind:     by_value
      - .offset:         80
        .size:           4
        .value_kind:     by_value
    .group_segment_fixed_size: 16
    .kernarg_segment_align: 8
    .kernarg_segment_size: 84
    .language:       OpenCL C
    .language_version:
      - 2
      - 0
    .max_flat_workgroup_size: 1024
    .name:           _ZN5aiter23fused_qk_rmsnorm_kernelItLi256ELi32ELb1ELi2EEEvPT_S2_PKS1_S4_S4_S4_ffiiiiiii
    .private_segment_fixed_size: 0
    .sgpr_count:     36
    .sgpr_spill_count: 0
    .symbol:         _ZN5aiter23fused_qk_rmsnorm_kernelItLi256ELi32ELb1ELi2EEEvPT_S2_PKS1_S4_S4_S4_ffiiiiiii.kd
    .uniform_work_group_size: 1
    .uses_dynamic_stack: false
    .vgpr_count:     118
    .vgpr_spill_count: 0
    .wavefront_size: 64
  - .agpr_count:     0
    .args:
      - .actual_access:  write_only
        .address_space:  global
        .offset:         0
        .size:           8
        .value_kind:     global_buffer
      - .actual_access:  write_only
        .address_space:  global
        .offset:         8
        .size:           8
        .value_kind:     global_buffer
      - .actual_access:  read_only
        .address_space:  global
        .offset:         16
        .size:           8
        .value_kind:     global_buffer
      - .actual_access:  read_only
        .address_space:  global
        .offset:         24
        .size:           8
        .value_kind:     global_buffer
      - .actual_access:  read_only
        .address_space:  global
        .offset:         32
        .size:           8
        .value_kind:     global_buffer
      - .actual_access:  read_only
        .address_space:  global
        .offset:         40
        .size:           8
        .value_kind:     global_buffer
      - .offset:         48
        .size:           4
        .value_kind:     by_value
      - .offset:         52
        .size:           4
        .value_kind:     by_value
      - .offset:         56
        .size:           4
        .value_kind:     by_value
      - .offset:         60
        .size:           4
        .value_kind:     by_value
      - .offset:         64
        .size:           4
        .value_kind:     by_value
      - .offset:         68
        .size:           4
        .value_kind:     by_value
      - .offset:         72
        .size:           4
        .value_kind:     by_value
      - .offset:         76
        .size:           4
        .value_kind:     by_value
      - .offset:         80
        .size:           4
        .value_kind:     by_value
    .group_segment_fixed_size: 16
    .kernarg_segment_align: 8
    .kernarg_segment_size: 84
    .language:       OpenCL C
    .language_version:
      - 2
      - 0
    .max_flat_workgroup_size: 1024
    .name:           _ZN5aiter23fused_qk_rmsnorm_kernelIDF16_Li256ELi32ELb1ELi1EEEvPT_S2_PKS1_S4_S4_S4_ffiiiiiii
    .private_segment_fixed_size: 0
    .sgpr_count:     36
    .sgpr_spill_count: 0
    .symbol:         _ZN5aiter23fused_qk_rmsnorm_kernelIDF16_Li256ELi32ELb1ELi1EEEvPT_S2_PKS1_S4_S4_S4_ffiiiiiii.kd
    .uniform_work_group_size: 1
    .uses_dynamic_stack: false
    .vgpr_count:     60
    .vgpr_spill_count: 0
    .wavefront_size: 64
  - .agpr_count:     0
    .args:
      - .actual_access:  write_only
        .address_space:  global
        .offset:         0
        .size:           8
        .value_kind:     global_buffer
      - .actual_access:  write_only
        .address_space:  global
        .offset:         8
        .size:           8
        .value_kind:     global_buffer
      - .actual_access:  read_only
        .address_space:  global
        .offset:         16
        .size:           8
        .value_kind:     global_buffer
      - .actual_access:  read_only
        .address_space:  global
        .offset:         24
        .size:           8
        .value_kind:     global_buffer
      - .actual_access:  read_only
        .address_space:  global
        .offset:         32
        .size:           8
        .value_kind:     global_buffer
      - .actual_access:  read_only
        .address_space:  global
        .offset:         40
        .size:           8
        .value_kind:     global_buffer
      - .offset:         48
        .size:           4
        .value_kind:     by_value
      - .offset:         52
        .size:           4
        .value_kind:     by_value
      - .offset:         56
        .size:           4
        .value_kind:     by_value
      - .offset:         60
        .size:           4
        .value_kind:     by_value
      - .offset:         64
        .size:           4
        .value_kind:     by_value
      - .offset:         68
        .size:           4
        .value_kind:     by_value
      - .offset:         72
        .size:           4
        .value_kind:     by_value
      - .offset:         76
        .size:           4
        .value_kind:     by_value
      - .offset:         80
        .size:           4
        .value_kind:     by_value
    .group_segment_fixed_size: 16
    .kernarg_segment_align: 8
    .kernarg_segment_size: 84
    .language:       OpenCL C
    .language_version:
      - 2
      - 0
    .max_flat_workgroup_size: 1024
    .name:           _ZN5aiter23fused_qk_rmsnorm_kernelItLi256ELi32ELb1ELi1EEEvPT_S2_PKS1_S4_S4_S4_ffiiiiiii
    .private_segment_fixed_size: 0
    .sgpr_count:     36
    .sgpr_spill_count: 0
    .symbol:         _ZN5aiter23fused_qk_rmsnorm_kernelItLi256ELi32ELb1ELi1EEEvPT_S2_PKS1_S4_S4_S4_ffiiiiiii.kd
    .uniform_work_group_size: 1
    .uses_dynamic_stack: false
    .vgpr_count:     60
    .vgpr_spill_count: 0
    .wavefront_size: 64
amdhsa.target:   amdgcn-amd-amdhsa--gfx90a
amdhsa.version:
  - 1
  - 2
...

	.end_amdgpu_metadata
